;; amdgpu-corpus repo=ROCm/aiter kind=harvested arch=n/a opt=n/a

/root/src/amdgpu-assembly/repos/ROCm__aiter/hsa/gfx950/fp8gemm_blockscale/fp8gemm_bf16_blockscale_BpreShuffle_96x128.co:	file format elf64-amdgpu

Disassembly of section .text:

0000000000002300 <_ZN5aiter42fp8gemm_bf16_blockscale_BpreShuffle_96x128E>:
	s_and_b32 s1, s1, 0xffff                                   // 000000002300: 8601FF01 0000FFFF
	s_load_dwordx2 s[16:17], s[0:1], 0x0                       // 000000002308: C0060400 00000000
	s_load_dwordx2 s[4:5], s[0:1], 0x10                        // 000000002310: C0060100 00000010
	s_load_dwordx2 s[8:9], s[0:1], 0x20                        // 000000002318: C0060200 00000020
	s_load_dwordx2 s[20:21], s[0:1], 0x30                      // 000000002320: C0060500 00000030
	s_load_dwordx2 s[24:25], s[0:1], 0x40                      // 000000002328: C0060600 00000040
	s_load_dwordx2 s[28:29], s[0:1], 0x50                      // 000000002330: C0060700 00000050
	s_load_dword s32, s[0:1], 0x60                             // 000000002338: C0020800 00000060
	s_load_dword s33, s[0:1], 0x70                             // 000000002340: C0020840 00000070
	s_load_dword s34, s[0:1], 0x80                             // 000000002348: C0020880 00000080
	s_load_dword s35, s[0:1], 0x90                             // 000000002350: C00208C0 00000090
	s_load_dword s36, s[0:1], 0xa0                             // 000000002358: C0020900 000000A0
	s_load_dword s37, s[0:1], 0xb0                             // 000000002360: C0020940 000000B0
	s_load_dword s38, s[0:1], 0xc0                             // 000000002368: C0020980 000000C0
	s_load_dword s39, s[0:1], 0xd0                             // 000000002370: C00209C0 000000D0
	s_load_dword s40, s[0:1], 0xe0                             // 000000002378: C0020A00 000000E0
	s_load_dword s41, s[0:1], 0xf0                             // 000000002380: C0020A40 000000F0
	v_lshrrev_b32_e32 v1, 10, v0                               // 000000002388: 2002008A
	v_lshrrev_b32_e32 v2, 10, v1                               // 00000000238C: 2004028A
	v_and_b32_e32 v2, 0x3ff, v2                                // 000000002390: 260404FF 000003FF
	v_and_b32_e32 v1, 0x3ff, v1                                // 000000002398: 260202FF 000003FF
	v_and_b32_e32 v0, 0x3ff, v0                                // 0000000023A0: 260000FF 000003FF
	v_lshrrev_b32_e32 v3, 6, v0                                // 0000000023A8: 20060086
	v_and_b32_e32 v0, 63, v0                                   // 0000000023AC: 260000BF
	s_mov_b32 s44, s2                                          // 0000000023B0: BEAC0002
	s_mov_b32 s45, s3                                          // 0000000023B4: BEAD0003
	s_waitcnt lgkmcnt(0)                                       // 0000000023B8: BF8CC07F
	v_readfirstlane_b32 s47, v3                                // 0000000023BC: 7E5E0503
	s_mov_b32 s6, 0x80000000                                   // 0000000023C0: BE8600FF 80000000
	s_mov_b32 s10, 0x80000000                                  // 0000000023C8: BE8A00FF 80000000
	s_mov_b32 s22, 0x80000000                                  // 0000000023D0: BE9600FF 80000000
	s_mov_b32 s26, 0x80000000                                  // 0000000023D8: BE9A00FF 80000000
	s_mov_b32 s30, 0x80000000                                  // 0000000023E0: BE9E00FF 80000000
	s_mov_b32 s7, 0x20000                                      // 0000000023E8: BE8700FF 00020000
	s_mov_b32 s11, 0x20000                                     // 0000000023F0: BE8B00FF 00020000
	s_mov_b32 s23, 0x20000                                     // 0000000023F8: BE9700FF 00020000
	s_mov_b32 s27, 0x20000                                     // 000000002400: BE9B00FF 00020000
	s_mov_b32 s31, 0x20000                                     // 000000002408: BE9F00FF 00020000
	s_and_b32 s5, s5, 0xffff                                   // 000000002410: 8605FF05 0000FFFF
	s_and_b32 s9, s9, 0xffff                                   // 000000002418: 8609FF09 0000FFFF
	s_and_b32 s21, s21, 0xffff                                 // 000000002420: 8615FF15 0000FFFF
	s_and_b32 s25, s25, 0xffff                                 // 000000002428: 8619FF19 0000FFFF
	s_and_b32 s29, s29, 0xffff                                 // 000000002430: 861DFF1D 0000FFFF
	s_or_b32 s5, s5, 0x40000                                   // 000000002438: 8705FF05 00040000
	s_or_b32 s9, s9, 0x40000                                   // 000000002440: 8709FF09 00040000
	s_or_b32 s21, s21, 0x40000                                 // 000000002448: 8715FF15 00040000
	s_or_b32 s25, s25, 0x40000                                 // 000000002450: 8719FF19 00040000
	s_or_b32 s29, s29, 0x40000                                 // 000000002458: 871DFF1D 00040000
	s_mov_b32 s61, s44                                         // 000000002460: BEBD002C
	s_mov_b32 s62, s38                                         // 000000002464: BEBE0026
	v_cvt_f32_u32_e32 v4, s62                                  // 000000002468: 7E080C3E
	s_sub_i32 s50, 0, s62                                      // 00000000246C: 81B23E80
	v_rcp_iflag_f32_e32 v4, v4                                 // 000000002470: 7E084704
	s_nop 0                                                    // 000000002474: BF800000
	v_mul_f32_e32 v4, 0x4f7ffffe, v4                           // 000000002478: 0A0808FF 4F7FFFFE
	v_cvt_u32_f32_e32 v4, v4                                   // 000000002480: 7E080F04
	v_mul_lo_u32 v5, s50, v4                                   // 000000002484: D2850005 00020832
	v_mul_hi_u32 v5, v4, v5                                    // 00000000248C: D2860005 00020B04
	v_add_u32_e32 v4, v4, v5                                   // 000000002494: 68080B04
	v_mul_hi_u32 v4, s61, v4                                   // 000000002498: D2860004 0002083D
	v_mul_lo_u32 v5, v4, s62                                   // 0000000024A0: D2850005 00007D04
	v_sub_u32_e32 v7, s61, v5                                  // 0000000024A8: 6A0E0A3D
	v_add_u32_e32 v6, 1, v4                                    // 0000000024AC: 680C0881
	v_cmp_le_u32_e32 vcc, s62, v7                              // 0000000024B0: 7D960E3E
	v_subrev_u32_e32 v5, s62, v7                               // 0000000024B4: 6C0A0E3E
	s_nop 0                                                    // 0000000024B8: BF800000
	v_cndmask_b32_e32 v4, v4, v6, vcc                          // 0000000024BC: 00080D04
	v_cndmask_b32_e32 v7, v7, v5, vcc                          // 0000000024C0: 000E0B07
	v_add_u32_e32 v5, 1, v4                                    // 0000000024C4: 680A0881
	v_cmp_le_u32_e32 vcc, s62, v7                              // 0000000024C8: 7D960E3E
	s_nop 1                                                    // 0000000024CC: BF800001
	v_cndmask_b32_e32 v7, v4, v5, vcc                          // 0000000024D0: 000E0B04
	s_nop 3                                                    // 0000000024D4: BF800003
	v_readfirstlane_b32 s63, v7                                // 0000000024D8: 7E7E0507
	s_nop 3                                                    // 0000000024DC: BF800003
	s_mov_b32 s44, s63                                         // 0000000024E0: BEAC003F
	s_mul_i32 s50, s44, s38                                    // 0000000024E4: 9232262C
	s_sub_u32 s75, s61, s50                                    // 0000000024E8: 80CB323D
	s_mov_b32 s61, s34                                         // 0000000024EC: BEBD0022
	s_mov_b32 s62, s38                                         // 0000000024F0: BEBE0026
	v_cvt_f32_u32_e32 v4, s62                                  // 0000000024F4: 7E080C3E
	s_sub_i32 s50, 0, s62                                      // 0000000024F8: 81B23E80
	v_rcp_iflag_f32_e32 v4, v4                                 // 0000000024FC: 7E084704
	s_nop 0                                                    // 000000002500: BF800000
	v_mul_f32_e32 v4, 0x4f7ffffe, v4                           // 000000002504: 0A0808FF 4F7FFFFE
	v_cvt_u32_f32_e32 v4, v4                                   // 00000000250C: 7E080F04
	v_mul_lo_u32 v5, s50, v4                                   // 000000002510: D2850005 00020832
	v_mul_hi_u32 v5, v4, v5                                    // 000000002518: D2860005 00020B04
	v_add_u32_e32 v4, v4, v5                                   // 000000002520: 68080B04
	v_mul_hi_u32 v4, s61, v4                                   // 000000002524: D2860004 0002083D
	v_mul_lo_u32 v5, v4, s62                                   // 00000000252C: D2850005 00007D04
	v_sub_u32_e32 v7, s61, v5                                  // 000000002534: 6A0E0A3D
	v_add_u32_e32 v6, 1, v4                                    // 000000002538: 680C0881
	v_cmp_le_u32_e32 vcc, s62, v7                              // 00000000253C: 7D960E3E
	v_subrev_u32_e32 v5, s62, v7                               // 000000002540: 6C0A0E3E
	s_nop 0                                                    // 000000002544: BF800000
	v_cndmask_b32_e32 v4, v4, v6, vcc                          // 000000002548: 00080D04
	v_cndmask_b32_e32 v7, v7, v5, vcc                          // 00000000254C: 000E0B07
	v_add_u32_e32 v5, 1, v4                                    // 000000002550: 680A0881
	v_cmp_le_u32_e32 vcc, s62, v7                              // 000000002554: 7D960E3E
	s_nop 1                                                    // 000000002558: BF800001
	v_cndmask_b32_e32 v7, v4, v5, vcc                          // 00000000255C: 000E0B04
	s_nop 3                                                    // 000000002560: BF800003
	v_readfirstlane_b32 s63, v7                                // 000000002564: 7E7E0507
	s_nop 3                                                    // 000000002568: BF800003
	s_add_u32 s63, 0x7f, s63                                   // 00000000256C: 803F3FFF 0000007F
	s_lshr_b32 s63, s63, 7                                     // 000000002574: 8F3F873F
	s_lshl_b32 s76, s63, 7                                     // 000000002578: 8E4C873F
	s_mul_i32 s51, s76, s75                                    // 00000000257C: 92334B4C
	s_sub_i32 s50, s34, s51                                    // 000000002580: 81B23322
	s_cmp_lt_i32 s50, s76                                      // 000000002584: BF044C32
	s_cselect_b32 s34, s50, s76                                // 000000002588: 85224C32
	s_mul_i32 s50, s45, 0x60                                   // 00000000258C: 9232FF2D 00000060
	s_mul_i32 s51, s50, s37                                    // 000000002594: 92332532
	s_mul_hi_u32 s52, s50, s37                                 // 000000002598: 96342532
	s_add_u32 s16, s16, s51                                    // 00000000259C: 80103310
	s_addc_u32 s17, s17, s52                                   // 0000000025A0: 82113411
	s_mul_i32 s50, s44, 0x80                                   // 0000000025A4: 9232FF2C 00000080
	s_mul_i32 s51, s50, 2                                      // 0000000025AC: 92338232
	s_mul_hi_u32 s52, s50, 2                                   // 0000000025B0: 96348232
	s_add_u32 s16, s16, s51                                    // 0000000025B4: 80103310
	s_addc_u32 s17, s17, s52                                   // 0000000025B8: 82113411
	s_mov_b32 s80, s16                                         // 0000000025BC: BED00010
	s_mov_b32 s81, s17                                         // 0000000025C0: BED10011
	s_mul_i32 s50, s45, 0x60                                   // 0000000025C4: 9232FF2D 00000060
	s_sub_i32 s51, s32, s50                                    // 0000000025CC: 81B33220
	s_cmp_lt_u32 s51, 0x60                                     // 0000000025D0: BF0AFF33 00000060
	s_cselect_b32 s50, s51, 0x60                               // 0000000025D8: 8532FF33 00000060
	s_mul_i32 s51, s50, s37                                    // 0000000025E0: 92332532
	s_mov_b32 s18, s51                                         // 0000000025E4: BE920033
	s_mov_b32 s82, 0x80000000                                  // 0000000025E8: BED200FF 80000000
	s_mov_b32 s19, 0x20000                                     // 0000000025F0: BE9300FF 00020000
	s_and_b32 s17, s17, 0xffff                                 // 0000000025F8: 8611FF11 0000FFFF
	s_and_b32 s81, s81, 0xffff                                 // 000000002600: 8651FF51 0000FFFF
	s_or_b32 s17, s17, 0x40000                                 // 000000002608: 8711FF11 00040000
	s_mov_b32 s48, 0x7060302                                   // 000000002610: BEB000FF 07060302
	v_mov_b32_e32 v9, 0xffff0000                               // 000000002618: 7E1202FF FFFF0000
	v_mov_b32_e32 v10, 0x7fff0000                              // 000000002620: 7E1402FF 7FFF0000
	v_mov_b32_e32 v11, 0x7fff                                  // 000000002628: 7E1602FF 00007FFF
	s_mul_i32 s50, 0x80, s44                                   // 000000002630: 92322CFF 00000080
	s_mul_hi_u32 s51, 4, s50                                   // 000000002638: 96333284
	s_add_u32 s29, s29, s51                                    // 00000000263C: 801D331D
	s_mul_i32 s51, 4, s50                                      // 000000002640: 92333284
	s_add_u32 s28, s28, s51                                    // 000000002644: 801C331C
	s_addc_u32 s29, s29, 0                                     // 000000002648: 821D801D
	s_sub_i32 s51, s33, s50                                    // 00000000264C: 81B33221
	s_cmp_lt_u32 s51, 0x80                                     // 000000002650: BF0AFF33 00000080
	s_cselect_b32 s50, s51, 0x80                               // 000000002658: 8532FF33 00000080
	s_mul_i32 s51, 4, s50                                      // 000000002660: 92333284
	s_mov_b32 s30, s51                                         // 000000002664: BE9E0033
	s_mov_b32 s31, 0x20000                                     // 000000002668: BE9F00FF 00020000
	v_lshrrev_b32_e32 v4, 4, v0                                // 000000002670: 20080084
	v_lshlrev_b32_e32 v4, 4, v4                                // 000000002674: 24080884
	s_mul_i32 s52, s47, 0x80                                   // 000000002678: 9234FF2F 00000080
	v_add_u32_e64 v4, v4, s52                                  // 000000002680: D1340004 00006904
	v_add_u32_e64 v5, v4, 64                                   // 000000002688: D1340005 00018104
	buffer_load_dwordx4 v[12:15], v4, s[28:31], 0 offen        // 000000002690: E05C1000 80070C04
	buffer_load_dwordx4 v[16:19], v5, s[28:31], 0 offen        // 000000002698: E05C1000 80071005
	s_mul_i32 s50, 0x60, s45                                   // 0000000026A0: 92322DFF 00000060
	s_mul_hi_u32 s52, 4, s50                                   // 0000000026A8: 96343284
	s_mul_i32 s51, 4, s50                                      // 0000000026AC: 92333284
	s_add_u32 s20, s20, s51                                    // 0000000026B0: 80143314
	s_addc_u32 s21, s21, s52                                   // 0000000026B4: 82153415
	s_sub_i32 s51, s32, s50                                    // 0000000026B8: 81B33220
	s_cmp_lt_u32 s51, 0x60                                     // 0000000026BC: BF0AFF33 00000060
	s_cselect_b32 s50, s51, 0x60                               // 0000000026C4: 8532FF33 00000060
	s_lshl_b32 s51, s50, 2                                     // 0000000026CC: 8E338232
	s_mov_b32 s22, s51                                         // 0000000026D0: BE960033
	s_mov_b32 s23, 0x20000                                     // 0000000026D4: BE9700FF 00020000
	s_lshr_b32 s50, s76, 7                                     // 0000000026DC: 8F32874C
	s_mul_i32 s50, s50, s75                                    // 0000000026E0: 92324B32
	s_mul_i32 s51, s50, s32                                    // 0000000026E4: 92332032
	s_mul_hi_u32 s52, s50, s32                                 // 0000000026E8: 96342032
	s_lshr_b32 s50, s51, 30                                    // 0000000026EC: 8F329E33
	s_lshl_b32 s51, s51, 2                                     // 0000000026F0: 8E338233
	s_lshl_b32 s52, s52, 2                                     // 0000000026F4: 8E348234
	s_add_u32 s52, s52, s50                                    // 0000000026F8: 80343234
	s_add_u32 s20, s20, s51                                    // 0000000026FC: 80143314
	s_addc_u32 s21, s21, s52                                   // 000000002700: 82153415
	v_and_b32_e64 v187, v0, 15                                 // 000000002704: D11300BB 00011F00
	v_lshlrev_b32_e32 v187, 2, v187                            // 00000000270C: 25777682
	s_mov_b32 s50, 64                                          // 000000002710: BEB200C0
	v_add_u32_e64 v188, v187, s50                              // 000000002714: D13400BC 000065BB
	s_mov_b32 s50, 0x80                                        // 00000000271C: BEB200FF 00000080
	v_add_u32_e64 v189, v187, s50                              // 000000002724: D13400BD 000065BB
	s_mov_b32 s50, 0xc0                                        // 00000000272C: BEB200FF 000000C0
	v_add_u32_e64 v190, v187, s50                              // 000000002734: D13400BE 000065BB
	s_mov_b32 s50, 0x100                                       // 00000000273C: BEB200FF 00000100
	v_add_u32_e64 v191, v187, s50                              // 000000002744: D13400BF 000065BB
	s_mov_b32 s50, 0x140                                       // 00000000274C: BEB200FF 00000140
	v_add_u32_e64 v192, v187, s50                              // 000000002754: D13400C0 000065BB
	s_mul_i32 s51, s41, s44                                    // 00000000275C: 92332C29
	s_mul_hi_u32 s52, 4, s51                                   // 000000002760: 96343384
	s_add_u32 s25, s25, s52                                    // 000000002764: 80193419
	s_mul_i32 s52, 4, s51                                      // 000000002768: 92343384
	s_add_u32 s24, s24, s52                                    // 00000000276C: 80183418
	s_addc_u32 s25, s25, 0                                     // 000000002770: 82198019
	s_lshr_b32 s50, s76, 7                                     // 000000002774: 8F32874C
	s_mul_i32 s50, s50, s75                                    // 000000002778: 92324B32
	s_lshl_b32 s50, s50, 2                                     // 00000000277C: 8E328232
	s_add_u32 s24, s24, s50                                    // 000000002780: 80183218
	s_addc_u32 s25, s25, 0                                     // 000000002784: 82198019
	s_sub_u32 s26, s26, s50                                    // 000000002788: 809A321A
	v_mov_b32_e32 v199, 0                                      // 00000000278C: 7F8E0280
	v_lshrrev_b32_e32 v4, 5, v0                                // 000000002790: 20080085
	v_lshlrev_b32_e32 v4, 2, v4                                // 000000002794: 24080882
	v_mul_i32_i24_e32 v4, s35, v4                              // 000000002798: 0C080823
	v_and_b32_e32 v38, 31, v0                                  // 00000000279C: 264C009F
	v_lshlrev_b32_e32 v38, 2, v38                              // 0000000027A0: 244C4C82
	s_mul_i32 s50, 0x60, s45                                   // 0000000027A4: 92322DFF 00000060
	s_sub_i32 s51, s32, s50                                    // 0000000027AC: 81B33220
	s_cmp_lt_u32 s51, 0x60                                     // 0000000027B0: BF0AFF33 00000060
	s_cselect_b32 s51, s51, 0x60                               // 0000000027B8: 8533FF33 00000060
	s_mul_i32 s52, s35, s50                                    // 0000000027C0: 92343223
	s_mul_hi_u32 s50, s35, s50                                 // 0000000027C4: 96323223
	s_add_u32 s4, s4, s52                                      // 0000000027C8: 80043404
	s_addc_u32 s5, s5, s50                                     // 0000000027CC: 82053205
	s_mul_i32 s50, s35, s51                                    // 0000000027D0: 92323323
	s_mov_b32 s6, s50                                          // 0000000027D4: BE860032
	s_mov_b32 s7, 0x20000                                      // 0000000027D8: BE8700FF 00020000
	s_mul_i32 s51, s76, s75                                    // 0000000027E0: 92334B4C
	s_add_u32 s4, s51, s4                                      // 0000000027E4: 80040433
	s_addc_u32 s5, 0, s5                                       // 0000000027E8: 82050580
	s_sub_u32 s6, s6, s51                                      // 0000000027EC: 80863306
	s_mul_i32 s50, s35, s47                                    // 0000000027F0: 92322F23
	v_add3_u32 v38, v4, v38, s50                               // 0000000027F4: D1FF0026 00CA4D04
	s_lshl_b32 s50, s35, 3                                     // 0000000027FC: 8E328323
	v_add_u32_e32 v39, s50, v38                                // 000000002800: 684E4C32
	v_add_u32_e32 v40, s50, v39                                // 000000002804: 68504E32
	v_add_u32_e32 v41, s50, v40                                // 000000002808: 68525032
	v_add_u32_e32 v42, s50, v41                                // 00000000280C: 68545232
	v_add_u32_e32 v43, s50, v42                                // 000000002810: 68565432
	v_add_u32_e32 v44, s50, v43                                // 000000002814: 68585632
	v_add_u32_e32 v45, s50, v44                                // 000000002818: 685A5832
	v_add_u32_e32 v46, s50, v45                                // 00000000281C: 685C5A32
	v_add_u32_e32 v47, s50, v46                                // 000000002820: 685E5C32
	v_add_u32_e32 v48, s50, v47                                // 000000002824: 68605E32
	v_add_u32_e32 v49, s50, v48                                // 000000002828: 68626032
	s_mov_b32 s54, 0x80                                        // 00000000282C: BEB600FF 00000080
	s_mul_i32 s56, s32, 4                                      // 000000002834: 92388420
	s_mov_b32 s57, 4                                           // 000000002838: BEB90084
	s_mov_b32 s50, 0x60                                        // 00000000283C: BEB200FF 00000060
	s_lshr_b32 s50, s50, 2                                     // 000000002844: 8F328232
	s_mul_i32 s50, s50, 32                                     // 000000002848: 9232A032
	s_mov_b32 s51, 8                                           // 00000000284C: BEB30088
	s_add_u32 s50, s50, s51                                    // 000000002850: 80323332
	v_lshrrev_b32_e32 v4, 4, v0                                // 000000002854: 20080084
	v_and_b32_e32 v5, 15, v0                                   // 000000002858: 260A008F
	v_and_b32_e32 v6, 3, v5                                    // 00000000285C: 260C0A83
	v_lshrrev_b32_e32 v7, 2, v5                                // 000000002860: 200E0A82
	v_lshlrev_b32_e32 v4, 2, v4                                // 000000002864: 24080882
	v_mul_lo_u32 v6, v6, s50                                   // 000000002868: D2850006 00006506
	v_lshlrev_b32_e32 v7, 5, v7                                // 000000002870: 240E0E85
	v_add_u32_e32 v4, v4, v6                                   // 000000002874: 68080D04
	v_add_u32_e32 v4, v4, v7                                   // 000000002878: 68080F04
	v_lshlrev_b32_e32 v50, 2, v4                               // 00000000287C: 24640882
	s_mul_i32 s50, 0xc20, s47                                  // 000000002880: 92322FFF 00000C20
	s_add_u32 s58, 0, s50                                      // 000000002888: 803A3280
	s_add_u32 s59, 0x3080, s58                                 // 00000000288C: 803B3AFF 00003080
	s_add_u32 s60, 0x3080, s59                                 // 000000002894: 803C3BFF 00003080
	s_mov_b32 s55, 0x800                                       // 00000000289C: BEB700FF 00000800
	s_mul_i32 s49, 0x80, s44                                   // 0000000028A4: 92312CFF 00000080
	s_sub_i32 s51, s33, s49                                    // 0000000028AC: 81B33121
	s_cmp_lt_u32 s51, 0x80                                     // 0000000028B0: BF0AFF33 00000080
	s_cselect_b32 s50, s51, 0x80                               // 0000000028B8: 8532FF33 00000080
	s_mul_i32 s51, s36, s49                                    // 0000000028C0: 92333124
	s_mul_hi_u32 s52, s36, s49                                 // 0000000028C4: 96343124
	s_add_u32 s8, s8, s51                                      // 0000000028C8: 80083308
	s_addc_u32 s9, s9, s52                                     // 0000000028CC: 82093409
	s_mul_i32 s51, s36, s50                                    // 0000000028D0: 92333224
	s_mov_b32 s10, s51                                         // 0000000028D4: BE8A0033
	s_mov_b32 s11, 0x20000                                     // 0000000028D8: BE8B00FF 00020000
	s_lshr_b32 s51, s76, 7                                     // 0000000028E0: 8F33874C
	s_mul_i32 s50, s55, s75                                    // 0000000028E4: 92324B37
	s_mul_i32 s50, s51, s50                                    // 0000000028E8: 92323233
	s_add_u32 s8, s50, s8                                      // 0000000028EC: 80080832
	s_addc_u32 s9, 0, s9                                       // 0000000028F0: 82090980
	s_sub_u32 s10, s10, s50                                    // 0000000028F4: 808A320A
	s_lshl_b32 s50, s47, 5                                     // 0000000028F8: 8E32852F
	s_mul_i32 s50, s36, s50                                    // 0000000028FC: 92323224
	v_lshlrev_b32_e32 v34, 4, v0                               // 000000002900: 24440084
	v_add_u32_e32 v34, s50, v34                                // 000000002904: 68444432
	s_mov_b32 s50, 0x400                                       // 000000002908: BEB200FF 00000400
	v_add_u32_e64 v35, v34, s50                                // 000000002910: D1340023 00006522
	s_mul_i32 s50, s36, 16                                     // 000000002918: 92329024
	v_add_u32_e64 v36, v34, s50                                // 00000000291C: D1340024 00006522
	v_add_u32_e64 v37, v35, s50                                // 000000002924: D1340025 00006523
	s_add_u32 m0, 0, s58                                       // 00000000292C: 807C3A80
	buffer_load_dword v38, s[4:7], 0 offen lds                 // 000000002930: E0511000 80010026
	s_add_u32 m0, 0x100, s58                                   // 000000002938: 807C3AFF 00000100
	buffer_load_dword v39, s[4:7], 0 offen lds                 // 000000002940: E0511000 80010027
	s_add_u32 m0, 0x200, s58                                   // 000000002948: 807C3AFF 00000200
	;; [unrolled: 2-line block ×4, first 2 shown]
	buffer_load_dword v42, s[4:7], 0 offen lds                 // 000000002970: E0511000 8001002A
	s_add_u32 m0, 0x500, s58                                   // 000000002978: 807C3AFF 00000500
	buffer_load_dword v43, s[4:7], 0 offen lds                 // 000000002980: E0511000 8001002B
	s_add_u32 m0, 0x600, s58                                   // 000000002988: 807C3AFF 00000600
	buffer_load_dword v44, s[4:7], 0 offen lds                 // 000000002990: E0511000 8001002C
	s_add_u32 m0, 0x700, s58                                   // 000000002998: 807C3AFF 00000700
	buffer_load_dword v45, s[4:7], 0 offen lds                 // 0000000029A0: E0511000 8001002D
	s_add_u32 m0, 0x800, s58                                   // 0000000029A8: 807C3AFF 00000800
	buffer_load_dword v46, s[4:7], 0 offen lds                 // 0000000029B0: E0511000 8001002E
	s_add_u32 m0, 0x900, s58                                   // 0000000029B8: 807C3AFF 00000900
	buffer_load_dword v47, s[4:7], 0 offen lds                 // 0000000029C0: E0511000 8001002F
	s_add_u32 m0, 0xa00, s58                                   // 0000000029C8: 807C3AFF 00000A00
	buffer_load_dword v48, s[4:7], 0 offen lds                 // 0000000029D0: E0511000 80010030
	s_add_u32 m0, 0xb00, s58                                   // 0000000029D8: 807C3AFF 00000B00
	buffer_load_dword v49, s[4:7], 0 offen lds                 // 0000000029E0: E0511000 80010031
	s_mov_b32 s53, 0                                           // 0000000029E8: BEB50080
	s_add_u32 s50, 0x80, s53                                   // 0000000029EC: 803235FF 00000080
	s_cmp_lt_u32 s50, s34                                      // 0000000029F4: BF0A2232
	s_cselect_b32 s54, s54, 0                                  // 0000000029F8: 85368036
	s_add_u32 s4, s54, s4                                      // 0000000029FC: 80040436
	s_addc_u32 s5, 0, s5                                       // 000000002A00: 82050580
	s_sub_u32 s6, s6, s54                                      // 000000002A04: 80863606
	buffer_load_dword v148, v187, s[20:23], 0 offen            // 000000002A08: E0501000 800594BB
	buffer_load_dword v149, v188, s[20:23], 0 offen            // 000000002A10: E0501000 800595BC
	buffer_load_dword v150, v189, s[20:23], 0 offen            // 000000002A18: E0501000 800596BD
	buffer_load_dword v151, v190, s[20:23], 0 offen            // 000000002A20: E0501000 800597BE
	buffer_load_dword v152, v191, s[20:23], 0 offen            // 000000002A28: E0501000 800598BF
	buffer_load_dword v153, v192, s[20:23], 0 offen            // 000000002A30: E0501000 800599C0
	s_add_u32 s50, 0x80, s53                                   // 000000002A38: 803235FF 00000080
	s_cmp_lt_u32 s50, s34                                      // 000000002A40: BF0A2232
	s_cselect_b32 s56, s56, 0                                  // 000000002A44: 85388038
	s_add_u32 s20, s56, s20                                    // 000000002A48: 80141438
	s_addc_u32 s21, 0, s21                                     // 000000002A4C: 82151580
	v_mov_b32_e32 v100, 0                                      // 000000002A50: 7EC80280
	v_mov_b32_e32 v101, 0                                      // 000000002A54: 7ECA0280
	v_mov_b32_e32 v102, 0                                      // 000000002A58: 7ECC0280
	v_mov_b32_e32 v103, 0                                      // 000000002A5C: 7ECE0280
	v_mov_b32_e32 v104, 0                                      // 000000002A60: 7ED00280
	v_mov_b32_e32 v105, 0                                      // 000000002A64: 7ED20280
	v_mov_b32_e32 v106, 0                                      // 000000002A68: 7ED40280
	v_mov_b32_e32 v107, 0                                      // 000000002A6C: 7ED60280
	buffer_load_dwordx4 a[0:3], v34, s[8:11], 0 offen          // 000000002A70: E05C1000 80820022
	buffer_load_dwordx4 a[4:7], v35, s[8:11], 0 offen          // 000000002A78: E05C1000 80820423
	buffer_load_dwordx4 a[8:11], v36, s[8:11], 0 offen         // 000000002A80: E05C1000 80820824
	buffer_load_dwordx4 a[12:15], v37, s[8:11], 0 offen        // 000000002A88: E05C1000 80820C25
	s_mov_b32 s53, 0                                           // 000000002A90: BEB50080
	s_add_u32 s50, 0x80, s53                                   // 000000002A94: 803235FF 00000080
	s_cmp_lt_u32 s50, s34                                      // 000000002A9C: BF0A2232
	s_cselect_b32 s55, s55, 0                                  // 000000002AA0: 85378037
	s_add_u32 s8, s55, s8                                      // 000000002AA4: 80080837
	s_addc_u32 s9, 0, s9                                       // 000000002AA8: 82090980
	s_sub_u32 s10, s10, s55                                    // 000000002AAC: 808A370A
	buffer_load_dword v184, v199, s[24:27], 0 offen            // 000000002AB0: E0501000 8006B8C7
	s_add_u32 s50, 0x80, s53                                   // 000000002AB8: 803235FF 00000080
	s_cmp_lt_u32 s50, s34                                      // 000000002AC0: BF0A2232
	s_cselect_b32 s57, s57, 0                                  // 000000002AC4: 85398039
	s_add_u32 s24, s57, s24                                    // 000000002AC8: 80181839
	s_addc_u32 s25, 0, s25                                     // 000000002ACC: 82191980
	s_sub_u32 s26, s26, s57                                    // 000000002AD0: 809A391A
	s_add_u32 m0, 0, s59                                       // 000000002AD4: 807C3B80
	buffer_load_dword v38, s[4:7], 0 offen lds                 // 000000002AD8: E0511000 80010026
	s_add_u32 m0, 0x100, s59                                   // 000000002AE0: 807C3BFF 00000100
	buffer_load_dword v39, s[4:7], 0 offen lds                 // 000000002AE8: E0511000 80010027
	s_add_u32 m0, 0x200, s59                                   // 000000002AF0: 807C3BFF 00000200
	buffer_load_dword v40, s[4:7], 0 offen lds                 // 000000002AF8: E0511000 80010028
	s_add_u32 m0, 0x300, s59                                   // 000000002B00: 807C3BFF 00000300
	buffer_load_dword v41, s[4:7], 0 offen lds                 // 000000002B08: E0511000 80010029
	s_add_u32 m0, 0x400, s59                                   // 000000002B10: 807C3BFF 00000400
	buffer_load_dword v42, s[4:7], 0 offen lds                 // 000000002B18: E0511000 8001002A
	s_add_u32 m0, 0x500, s59                                   // 000000002B20: 807C3BFF 00000500
	buffer_load_dword v43, s[4:7], 0 offen lds                 // 000000002B28: E0511000 8001002B
	s_add_u32 m0, 0x600, s59                                   // 000000002B30: 807C3BFF 00000600
	buffer_load_dword v44, s[4:7], 0 offen lds                 // 000000002B38: E0511000 8001002C
	s_add_u32 m0, 0x700, s59                                   // 000000002B40: 807C3BFF 00000700
	buffer_load_dword v45, s[4:7], 0 offen lds                 // 000000002B48: E0511000 8001002D
	s_add_u32 m0, 0x800, s59                                   // 000000002B50: 807C3BFF 00000800
	buffer_load_dword v46, s[4:7], 0 offen lds                 // 000000002B58: E0511000 8001002E
	s_add_u32 m0, 0x900, s59                                   // 000000002B60: 807C3BFF 00000900
	buffer_load_dword v47, s[4:7], 0 offen lds                 // 000000002B68: E0511000 8001002F
	s_add_u32 m0, 0xa00, s59                                   // 000000002B70: 807C3BFF 00000A00
	buffer_load_dword v48, s[4:7], 0 offen lds                 // 000000002B78: E0511000 80010030
	s_add_u32 m0, 0xb00, s59                                   // 000000002B80: 807C3BFF 00000B00
	buffer_load_dword v49, s[4:7], 0 offen lds                 // 000000002B88: E0511000 80010031
	s_mov_b32 s53, 0x80                                        // 000000002B90: BEB500FF 00000080
	s_add_u32 s50, 0x80, s53                                   // 000000002B98: 803235FF 00000080
	s_cmp_lt_u32 s50, s34                                      // 000000002BA0: BF0A2232
	s_cselect_b32 s54, s54, 0                                  // 000000002BA4: 85368036
	s_add_u32 s4, s54, s4                                      // 000000002BA8: 80040436
	s_addc_u32 s5, 0, s5                                       // 000000002BAC: 82050580
	s_sub_u32 s6, s6, s54                                      // 000000002BB0: 80863606
	buffer_load_dword v154, v187, s[20:23], 0 offen            // 000000002BB4: E0501000 80059ABB
	buffer_load_dword v155, v188, s[20:23], 0 offen            // 000000002BBC: E0501000 80059BBC
	buffer_load_dword v156, v189, s[20:23], 0 offen            // 000000002BC4: E0501000 80059CBD
	buffer_load_dword v157, v190, s[20:23], 0 offen            // 000000002BCC: E0501000 80059DBE
	buffer_load_dword v158, v191, s[20:23], 0 offen            // 000000002BD4: E0501000 80059EBF
	buffer_load_dword v159, v192, s[20:23], 0 offen            // 000000002BDC: E0501000 80059FC0
	s_add_u32 s50, 0x80, s53                                   // 000000002BE4: 803235FF 00000080
	s_cmp_lt_u32 s50, s34                                      // 000000002BEC: BF0A2232
	s_cselect_b32 s56, s56, 0                                  // 000000002BF0: 85388038
	s_add_u32 s20, s56, s20                                    // 000000002BF4: 80141438
	s_addc_u32 s21, 0, s21                                     // 000000002BF8: 82151580
	v_mov_b32_e32 v108, 0                                      // 000000002BFC: 7ED80280
	v_mov_b32_e32 v109, 0                                      // 000000002C00: 7EDA0280
	v_mov_b32_e32 v110, 0                                      // 000000002C04: 7EDC0280
	v_mov_b32_e32 v111, 0                                      // 000000002C08: 7EDE0280
	v_mov_b32_e32 v112, 0                                      // 000000002C0C: 7EE00280
	v_mov_b32_e32 v113, 0                                      // 000000002C10: 7EE20280
	v_mov_b32_e32 v114, 0                                      // 000000002C14: 7EE40280
	v_mov_b32_e32 v115, 0                                      // 000000002C18: 7EE60280
	buffer_load_dwordx4 a[16:19], v34, s[8:11], 0 offen        // 000000002C1C: E05C1000 80821022
	buffer_load_dwordx4 a[20:23], v35, s[8:11], 0 offen        // 000000002C24: E05C1000 80821423
	buffer_load_dwordx4 a[24:27], v36, s[8:11], 0 offen        // 000000002C2C: E05C1000 80821824
	buffer_load_dwordx4 a[28:31], v37, s[8:11], 0 offen        // 000000002C34: E05C1000 80821C25
	s_mov_b32 s53, 0x80                                        // 000000002C3C: BEB500FF 00000080
	s_add_u32 s50, 0x80, s53                                   // 000000002C44: 803235FF 00000080
	s_cmp_lt_u32 s50, s34                                      // 000000002C4C: BF0A2232
	s_cselect_b32 s55, s55, 0                                  // 000000002C50: 85378037
	s_add_u32 s8, s55, s8                                      // 000000002C54: 80080837
	s_addc_u32 s9, 0, s9                                       // 000000002C58: 82090980
	s_sub_u32 s10, s10, s55                                    // 000000002C5C: 808A370A
	buffer_load_dword v185, v199, s[24:27], 0 offen            // 000000002C60: E0501000 8006B9C7
	s_add_u32 s50, 0x80, s53                                   // 000000002C68: 803235FF 00000080
	s_cmp_lt_u32 s50, s34                                      // 000000002C70: BF0A2232
	s_cselect_b32 s57, s57, 0                                  // 000000002C74: 85398039
	s_add_u32 s24, s57, s24                                    // 000000002C78: 80181839
	s_addc_u32 s25, 0, s25                                     // 000000002C7C: 82191980
	s_sub_u32 s26, s26, s57                                    // 000000002C80: 809A391A
	s_add_u32 m0, 0, s60                                       // 000000002C84: 807C3C80
	buffer_load_dword v38, s[4:7], 0 offen lds                 // 000000002C88: E0511000 80010026
	s_add_u32 m0, 0x100, s60                                   // 000000002C90: 807C3CFF 00000100
	buffer_load_dword v39, s[4:7], 0 offen lds                 // 000000002C98: E0511000 80010027
	s_add_u32 m0, 0x200, s60                                   // 000000002CA0: 807C3CFF 00000200
	buffer_load_dword v40, s[4:7], 0 offen lds                 // 000000002CA8: E0511000 80010028
	s_add_u32 m0, 0x300, s60                                   // 000000002CB0: 807C3CFF 00000300
	buffer_load_dword v41, s[4:7], 0 offen lds                 // 000000002CB8: E0511000 80010029
	s_add_u32 m0, 0x400, s60                                   // 000000002CC0: 807C3CFF 00000400
	buffer_load_dword v42, s[4:7], 0 offen lds                 // 000000002CC8: E0511000 8001002A
	s_add_u32 m0, 0x500, s60                                   // 000000002CD0: 807C3CFF 00000500
	buffer_load_dword v43, s[4:7], 0 offen lds                 // 000000002CD8: E0511000 8001002B
	s_add_u32 m0, 0x600, s60                                   // 000000002CE0: 807C3CFF 00000600
	buffer_load_dword v44, s[4:7], 0 offen lds                 // 000000002CE8: E0511000 8001002C
	s_add_u32 m0, 0x700, s60                                   // 000000002CF0: 807C3CFF 00000700
	buffer_load_dword v45, s[4:7], 0 offen lds                 // 000000002CF8: E0511000 8001002D
	s_add_u32 m0, 0x800, s60                                   // 000000002D00: 807C3CFF 00000800
	buffer_load_dword v46, s[4:7], 0 offen lds                 // 000000002D08: E0511000 8001002E
	s_add_u32 m0, 0x900, s60                                   // 000000002D10: 807C3CFF 00000900
	buffer_load_dword v47, s[4:7], 0 offen lds                 // 000000002D18: E0511000 8001002F
	s_add_u32 m0, 0xa00, s60                                   // 000000002D20: 807C3CFF 00000A00
	buffer_load_dword v48, s[4:7], 0 offen lds                 // 000000002D28: E0511000 80010030
	s_add_u32 m0, 0xb00, s60                                   // 000000002D30: 807C3CFF 00000B00
	buffer_load_dword v49, s[4:7], 0 offen lds                 // 000000002D38: E0511000 80010031
	s_mov_b32 s53, 0x100                                       // 000000002D40: BEB500FF 00000100
	s_add_u32 s50, 0x80, s53                                   // 000000002D48: 803235FF 00000080
	s_cmp_lt_u32 s50, s34                                      // 000000002D50: BF0A2232
	s_cselect_b32 s54, s54, 0                                  // 000000002D54: 85368036
	s_add_u32 s4, s54, s4                                      // 000000002D58: 80040436
	s_addc_u32 s5, 0, s5                                       // 000000002D5C: 82050580
	s_sub_u32 s6, s6, s54                                      // 000000002D60: 80863606
	buffer_load_dword v160, v187, s[20:23], 0 offen            // 000000002D64: E0501000 8005A0BB
	buffer_load_dword v161, v188, s[20:23], 0 offen            // 000000002D6C: E0501000 8005A1BC
	buffer_load_dword v162, v189, s[20:23], 0 offen            // 000000002D74: E0501000 8005A2BD
	buffer_load_dword v163, v190, s[20:23], 0 offen            // 000000002D7C: E0501000 8005A3BE
	buffer_load_dword v164, v191, s[20:23], 0 offen            // 000000002D84: E0501000 8005A4BF
	buffer_load_dword v165, v192, s[20:23], 0 offen            // 000000002D8C: E0501000 8005A5C0
	s_add_u32 s50, 0x80, s53                                   // 000000002D94: 803235FF 00000080
	s_cmp_lt_u32 s50, s34                                      // 000000002D9C: BF0A2232
	s_cselect_b32 s56, s56, 0                                  // 000000002DA0: 85388038
	s_add_u32 s20, s56, s20                                    // 000000002DA4: 80141438
	s_addc_u32 s21, 0, s21                                     // 000000002DA8: 82151580
	v_mov_b32_e32 v116, 0                                      // 000000002DAC: 7EE80280
	v_mov_b32_e32 v117, 0                                      // 000000002DB0: 7EEA0280
	v_mov_b32_e32 v118, 0                                      // 000000002DB4: 7EEC0280
	v_mov_b32_e32 v119, 0                                      // 000000002DB8: 7EEE0280
	v_mov_b32_e32 v120, 0                                      // 000000002DBC: 7EF00280
	v_mov_b32_e32 v121, 0                                      // 000000002DC0: 7EF20280
	v_mov_b32_e32 v122, 0                                      // 000000002DC4: 7EF40280
	v_mov_b32_e32 v123, 0                                      // 000000002DC8: 7EF60280
	v_mov_b32_e32 v124, 0                                      // 000000002DCC: 7EF80280
	v_mov_b32_e32 v125, 0                                      // 000000002DD0: 7EFA0280
	v_mov_b32_e32 v126, 0                                      // 000000002DD4: 7EFC0280
	v_mov_b32_e32 v127, 0                                      // 000000002DD8: 7EFE0280
	v_mov_b32_e32 v128, 0                                      // 000000002DDC: 7F000280
	v_mov_b32_e32 v129, 0                                      // 000000002DE0: 7F020280
	v_mov_b32_e32 v130, 0                                      // 000000002DE4: 7F040280
	v_mov_b32_e32 v131, 0                                      // 000000002DE8: 7F060280
	v_mov_b32_e32 v132, 0                                      // 000000002DEC: 7F080280
	v_mov_b32_e32 v133, 0                                      // 000000002DF0: 7F0A0280
	v_mov_b32_e32 v134, 0                                      // 000000002DF4: 7F0C0280
	v_mov_b32_e32 v135, 0                                      // 000000002DF8: 7F0E0280
	v_mov_b32_e32 v136, 0                                      // 000000002DFC: 7F100280
	v_mov_b32_e32 v137, 0                                      // 000000002E00: 7F120280
	v_mov_b32_e32 v138, 0                                      // 000000002E04: 7F140280
	v_mov_b32_e32 v139, 0                                      // 000000002E08: 7F160280
	v_mov_b32_e32 v140, 0                                      // 000000002E0C: 7F180280
	v_mov_b32_e32 v141, 0                                      // 000000002E10: 7F1A0280
	v_mov_b32_e32 v142, 0                                      // 000000002E14: 7F1C0280
	v_mov_b32_e32 v143, 0                                      // 000000002E18: 7F1E0280
	v_mov_b32_e32 v144, 0                                      // 000000002E1C: 7F200280
	v_mov_b32_e32 v145, 0                                      // 000000002E20: 7F220280
	v_mov_b32_e32 v146, 0                                      // 000000002E24: 7F240280
	v_mov_b32_e32 v147, 0                                      // 000000002E28: 7F260280
	s_mov_b32 s43, s34                                         // 000000002E2C: BEAB0022
	s_mov_b32 s42, 0                                           // 000000002E30: BEAA0080
	s_waitcnt vmcnt(46)                                        // 000000002E34: BF8C8F7E
	s_barrier                                                  // 000000002E38: BF8A0000
	ds_read_b128 a[48:51], v50                                 // 000000002E3C: DBFE0000 30000032
	ds_read_b128 a[52:55], v50 offset:64                       // 000000002E44: DBFE0040 34000032
	ds_read_b128 a[56:59], v50 offset:512                      // 000000002E4C: DBFE0200 38000032
	ds_read_b128 a[60:63], v50 offset:576                      // 000000002E54: DBFE0240 3C000032
	ds_read_b128 a[64:67], v50 offset:1024                     // 000000002E5C: DBFE0400 40000032
	ds_read_b128 a[68:71], v50 offset:1088                     // 000000002E64: DBFE0440 44000032
	ds_read_b128 a[72:75], v50 offset:1536                     // 000000002E6C: DBFE0600 48000032
	ds_read_b128 a[76:79], v50 offset:1600                     // 000000002E74: DBFE0640 4C000032
	ds_read_b128 a[80:83], v50 offset:2048                     // 000000002E7C: DBFE0800 50000032
	ds_read_b128 a[84:87], v50 offset:2112                     // 000000002E84: DBFE0840 54000032
	ds_read_b128 a[88:91], v50 offset:2560                     // 000000002E8C: DBFE0A00 58000032
	ds_read_b128 a[92:95], v50 offset:2624                     // 000000002E94: DBFE0A40 5C000032
	s_mov_b32 s50, 0                                           // 000000002E9C: BEB20080
	s_mov_b32 s51, 1.0                                         // 000000002EA0: BEB300F2
	s_cmp_eq_u32 s50, s75                                      // 000000002EA4: BF064B32
	s_cselect_b32 s50, s51, 0                                  // 000000002EA8: 85328033
	v_mul_f32_e64 v12, v12, s50                                // 000000002EAC: D105000C 0000650C
	v_mul_f32_e64 v13, v13, s50                                // 000000002EB4: D105000D 0000650D
	v_mul_f32_e64 v14, v14, s50                                // 000000002EBC: D105000E 0000650E
	v_mul_f32_e64 v15, v15, s50                                // 000000002EC4: D105000F 0000650F
	v_mul_f32_e64 v16, v16, s50                                // 000000002ECC: D1050010 00006510
	v_mul_f32_e64 v17, v17, s50                                // 000000002ED4: D1050011 00006511
	v_mul_f32_e64 v18, v18, s50                                // 000000002EDC: D1050012 00006512
	v_mul_f32_e64 v19, v19, s50                                // 000000002EE4: D1050013 00006513
	v_and_b32_e64 v20, v0, 15                                  // 000000002EEC: D1130014 00011F00
	v_mul_lo_u32 v20, v20, s37                                 // 000000002EF4: D2850014 00004B14
	v_lshrrev_b32_e32 v4, 4, v0                                // 000000002EFC: 20080084
	v_mul_i32_i24_e32 v4, 8, v4                                // 000000002F00: 0C080888
	v_add_u32_e32 v20, v4, v20                                 // 000000002F04: 68282904
	s_mul_i32 s50, 32, s47                                     // 000000002F08: 92322FA0
	s_mul_i32 s50, 2, s50                                      // 000000002F0C: 92323282
	v_add_u32_e32 v20, s50, v20                                // 000000002F10: 68282832
	s_mul_i32 s50, 16, s37                                     // 000000002F14: 92322590
	v_add_u32_e32 v21, s50, v20                                // 000000002F18: 682A2832
	v_add_u32_e32 v22, s50, v21                                // 000000002F1C: 682C2A32
	v_add_u32_e32 v23, s50, v22                                // 000000002F20: 682E2C32
	v_add_u32_e32 v24, s50, v23                                // 000000002F24: 68302E32
	v_add_u32_e32 v25, s50, v24                                // 000000002F28: 68323032
	s_mul_i32 s50, s47, s37                                    // 000000002F2C: 9232252F
	v_lshlrev_b32_e32 v5, 2, v0                                // 000000002F30: 240A0082
	v_add_u32_e32 v26, s50, v5                                 // 000000002F34: 68340A32
	s_mul_i32 s50, s45, 0x60                                   // 000000002F38: 9232FF2D 00000060
	s_add_i32 s77, s50, s47                                    // 000000002F40: 814D2F32
	s_cmp_lt_i32 s42, s43                                      // 000000002F44: BF042B2A
	s_cbranch_scc0 label_09AA                                  // 000000002F48: BF840697

0000000000002f4c <label_0313>:
	s_waitcnt vmcnt(22) lgkmcnt(0)                             // 000000002F4C: BF8C4076
	s_barrier                                                  // 000000002F50: BF8A0000
	v_mfma_f32_16x16x32_fp8_fp8 v[52:55], a[0:1], a[48:49], 0  // 000000002F54: D3F30034 1A026100
	s_add_u32 m0, 0, s58                                       // 000000002F5C: 807C3A80
	buffer_load_dword v38, s[4:7], 0 offen lds                 // 000000002F60: E0511000 80010026
	v_mfma_f32_16x16x32_fp8_fp8 v[52:55], a[2:3], a[50:51], v[52:55]// 000000002F68: D3F30034 1CD26502
	ds_read_b128 a[96:99], v50 offset:12416                    // 000000002F70: DBFE3080 60000032
	v_mfma_f32_16x16x32_fp8_fp8 v[52:55], a[4:5], a[52:53], v[52:55]// 000000002F78: D3F30034 1CD26904
	s_add_u32 m0, 0x100, s58                                   // 000000002F80: 807C3AFF 00000100
	buffer_load_dword v39, s[4:7], 0 offen lds                 // 000000002F88: E0511000 80010027
	v_mfma_f32_16x16x32_fp8_fp8 v[52:55], a[6:7], a[54:55], v[52:55]// 000000002F90: D3F30034 1CD26D06
	ds_read_b128 a[100:103], v50 offset:12480                  // 000000002F98: DBFE30C0 64000032
	v_mul_f32_e32 v4, v184, v148                               // 000000002FA0: 0A0929B8
	v_mov_b32_e32 v5, v4                                       // 000000002FA4: 7E0A0304
	v_mfma_f32_16x16x32_fp8_fp8 v[56:59], a[8:9], a[48:49], 0  // 000000002FA8: D3F30038 1A026108
	buffer_load_dwordx4 a[32:35], v34, s[8:11], 0 offen        // 000000002FB0: E05C1000 80822022
	v_mfma_f32_16x16x32_fp8_fp8 v[56:59], a[10:11], a[50:51], v[56:59]// 000000002FB8: D3F30038 1CE2650A
	buffer_load_dword v148, v187, s[20:23], 0 offen            // 000000002FC0: E0501000 800594BB
	v_mfma_f32_16x16x32_fp8_fp8 v[56:59], a[12:13], a[52:53], v[56:59]// 000000002FC8: D3F30038 1CE2690C
	buffer_load_dwordx4 a[36:39], v35, s[8:11], 0 offen        // 000000002FD0: E05C1000 80822423
	v_mfma_f32_16x16x32_fp8_fp8 v[56:59], a[14:15], a[54:55], v[56:59]// 000000002FD8: D3F30038 1CE26D0E
	v_pk_fma_f32 v[100:101], v[4:5], v[52:53], v[100:101]      // 000000002FE0: D3B04064 1D926904
	v_pk_fma_f32 v[102:103], v[4:5], v[54:55], v[102:103]      // 000000002FE8: D3B04066 1D9A6D04
	v_pk_fma_f32 v[104:105], v[4:5], v[56:57], v[104:105]      // 000000002FF0: D3B04068 1DA27104
	v_pk_fma_f32 v[106:107], v[4:5], v[58:59], v[106:107]      // 000000002FF8: D3B0406A 1DAA7504
	v_mfma_f32_16x16x32_fp8_fp8 v[60:63], a[0:1], a[56:57], 0  // 000000003000: D3F3003C 1A027100
	s_add_u32 m0, 0x200, s58                                   // 000000003008: 807C3AFF 00000200
	buffer_load_dword v40, s[4:7], 0 offen lds                 // 000000003010: E0511000 80010028
	v_mfma_f32_16x16x32_fp8_fp8 v[60:63], a[2:3], a[58:59], v[60:63]// 000000003018: D3F3003C 1CF27502
	ds_read_b128 a[104:107], v50 offset:12928                  // 000000003020: DBFE3280 68000032
	v_mfma_f32_16x16x32_fp8_fp8 v[60:63], a[4:5], a[60:61], v[60:63]// 000000003028: D3F3003C 1CF27904
	s_add_u32 m0, 0x300, s58                                   // 000000003030: 807C3AFF 00000300
	buffer_load_dword v41, s[4:7], 0 offen lds                 // 000000003038: E0511000 80010029
	v_mfma_f32_16x16x32_fp8_fp8 v[60:63], a[6:7], a[62:63], v[60:63]// 000000003040: D3F3003C 1CF27D06
	ds_read_b128 a[108:111], v50 offset:12992                  // 000000003048: DBFE32C0 6C000032
	v_mul_f32_e32 v4, v184, v149                               // 000000003050: 0A092BB8
	v_mov_b32_e32 v5, v4                                       // 000000003054: 7E0A0304
	v_mfma_f32_16x16x32_fp8_fp8 v[64:67], a[8:9], a[56:57], 0  // 000000003058: D3F30040 1A027108
	buffer_load_dwordx4 a[40:43], v36, s[8:11], 0 offen        // 000000003060: E05C1000 80822824
	v_mfma_f32_16x16x32_fp8_fp8 v[64:67], a[10:11], a[58:59], v[64:67]// 000000003068: D3F30040 1D02750A
	buffer_load_dword v149, v188, s[20:23], 0 offen            // 000000003070: E0501000 800595BC
	v_mfma_f32_16x16x32_fp8_fp8 v[64:67], a[12:13], a[60:61], v[64:67]// 000000003078: D3F30040 1D02790C
	buffer_load_dwordx4 a[44:47], v37, s[8:11], 0 offen        // 000000003080: E05C1000 80822C25
	v_mfma_f32_16x16x32_fp8_fp8 v[64:67], a[14:15], a[62:63], v[64:67]// 000000003088: D3F30040 1D027D0E
	v_pk_fma_f32 v[108:109], v[4:5], v[60:61], v[108:109]      // 000000003090: D3B0406C 1DB27904
	v_pk_fma_f32 v[110:111], v[4:5], v[62:63], v[110:111]      // 000000003098: D3B0406E 1DBA7D04
	v_pk_fma_f32 v[112:113], v[4:5], v[64:65], v[112:113]      // 0000000030A0: D3B04070 1DC28104
	v_pk_fma_f32 v[114:115], v[4:5], v[66:67], v[114:115]      // 0000000030A8: D3B04072 1DCA8504
	v_mfma_f32_16x16x32_fp8_fp8 v[68:71], a[0:1], a[64:65], 0  // 0000000030B0: D3F30044 1A028100
	s_add_u32 m0, 0x400, s58                                   // 0000000030B8: 807C3AFF 00000400
	buffer_load_dword v42, s[4:7], 0 offen lds                 // 0000000030C0: E0511000 8001002A
	v_mfma_f32_16x16x32_fp8_fp8 v[68:71], a[2:3], a[66:67], v[68:71]// 0000000030C8: D3F30044 1D128502
	ds_read_b128 a[112:115], v50 offset:13440                  // 0000000030D0: DBFE3480 70000032
	v_mfma_f32_16x16x32_fp8_fp8 v[68:71], a[4:5], a[68:69], v[68:71]// 0000000030D8: D3F30044 1D128904
	s_add_u32 m0, 0x500, s58                                   // 0000000030E0: 807C3AFF 00000500
	buffer_load_dword v43, s[4:7], 0 offen lds                 // 0000000030E8: E0511000 8001002B
	v_mfma_f32_16x16x32_fp8_fp8 v[68:71], a[6:7], a[70:71], v[68:71]// 0000000030F0: D3F30044 1D128D06
	ds_read_b128 a[116:119], v50 offset:13504                  // 0000000030F8: DBFE34C0 74000032
	v_mul_f32_e32 v4, v184, v150                               // 000000003100: 0A092DB8
	v_mov_b32_e32 v5, v4                                       // 000000003104: 7E0A0304
	v_mfma_f32_16x16x32_fp8_fp8 v[72:75], a[8:9], a[64:65], 0  // 000000003108: D3F30048 1A028108
	v_mfma_f32_16x16x32_fp8_fp8 v[72:75], a[10:11], a[66:67], v[72:75]// 000000003110: D3F30048 1D22850A
	buffer_load_dword v150, v189, s[20:23], 0 offen            // 000000003118: E0501000 800596BD
	v_mfma_f32_16x16x32_fp8_fp8 v[72:75], a[12:13], a[68:69], v[72:75]// 000000003120: D3F30048 1D22890C
	v_mfma_f32_16x16x32_fp8_fp8 v[72:75], a[14:15], a[70:71], v[72:75]// 000000003128: D3F30048 1D228D0E
	v_pk_fma_f32 v[116:117], v[4:5], v[68:69], v[116:117]      // 000000003130: D3B04074 1DD28904
	v_pk_fma_f32 v[118:119], v[4:5], v[70:71], v[118:119]      // 000000003138: D3B04076 1DDA8D04
	v_pk_fma_f32 v[120:121], v[4:5], v[72:73], v[120:121]      // 000000003140: D3B04078 1DE29104
	v_pk_fma_f32 v[122:123], v[4:5], v[74:75], v[122:123]      // 000000003148: D3B0407A 1DEA9504
	v_mfma_f32_16x16x32_fp8_fp8 v[76:79], a[0:1], a[72:73], 0  // 000000003150: D3F3004C 1A029100
	s_add_u32 m0, 0x600, s58                                   // 000000003158: 807C3AFF 00000600
	buffer_load_dword v44, s[4:7], 0 offen lds                 // 000000003160: E0511000 8001002C
	v_mfma_f32_16x16x32_fp8_fp8 v[76:79], a[2:3], a[74:75], v[76:79]// 000000003168: D3F3004C 1D329502
	ds_read_b128 a[120:123], v50 offset:13952                  // 000000003170: DBFE3680 78000032
	v_mfma_f32_16x16x32_fp8_fp8 v[76:79], a[4:5], a[76:77], v[76:79]// 000000003178: D3F3004C 1D329904
	s_add_u32 m0, 0x700, s58                                   // 000000003180: 807C3AFF 00000700
	buffer_load_dword v45, s[4:7], 0 offen lds                 // 000000003188: E0511000 8001002D
	v_mfma_f32_16x16x32_fp8_fp8 v[76:79], a[6:7], a[78:79], v[76:79]// 000000003190: D3F3004C 1D329D06
	ds_read_b128 a[124:127], v50 offset:14016                  // 000000003198: DBFE36C0 7C000032
	v_mul_f32_e32 v4, v184, v151                               // 0000000031A0: 0A092FB8
	v_mov_b32_e32 v5, v4                                       // 0000000031A4: 7E0A0304
	v_mfma_f32_16x16x32_fp8_fp8 v[80:83], a[8:9], a[72:73], 0  // 0000000031A8: D3F30050 1A029108
	v_mfma_f32_16x16x32_fp8_fp8 v[80:83], a[10:11], a[74:75], v[80:83]// 0000000031B0: D3F30050 1D42950A
	buffer_load_dword v151, v190, s[20:23], 0 offen            // 0000000031B8: E0501000 800597BE
	v_mfma_f32_16x16x32_fp8_fp8 v[80:83], a[12:13], a[76:77], v[80:83]// 0000000031C0: D3F30050 1D42990C
	v_mfma_f32_16x16x32_fp8_fp8 v[80:83], a[14:15], a[78:79], v[80:83]// 0000000031C8: D3F30050 1D429D0E
	v_pk_fma_f32 v[124:125], v[4:5], v[76:77], v[124:125]      // 0000000031D0: D3B0407C 1DF29904
	v_pk_fma_f32 v[126:127], v[4:5], v[78:79], v[126:127]      // 0000000031D8: D3B0407E 1DFA9D04
	v_pk_fma_f32 v[128:129], v[4:5], v[80:81], v[128:129]      // 0000000031E0: D3B04080 1E02A104
	v_pk_fma_f32 v[130:131], v[4:5], v[82:83], v[130:131]      // 0000000031E8: D3B04082 1E0AA504
	v_mfma_f32_16x16x32_fp8_fp8 v[84:87], a[0:1], a[80:81], 0  // 0000000031F0: D3F30054 1A02A100
	s_add_u32 m0, 0x800, s58                                   // 0000000031F8: 807C3AFF 00000800
	buffer_load_dword v46, s[4:7], 0 offen lds                 // 000000003200: E0511000 8001002E
	v_mfma_f32_16x16x32_fp8_fp8 v[84:87], a[2:3], a[82:83], v[84:87]// 000000003208: D3F30054 1D52A502
	ds_read_b128 a[128:131], v50 offset:14464                  // 000000003210: DBFE3880 80000032
	v_mfma_f32_16x16x32_fp8_fp8 v[84:87], a[4:5], a[84:85], v[84:87]// 000000003218: D3F30054 1D52A904
	s_add_u32 m0, 0x900, s58                                   // 000000003220: 807C3AFF 00000900
	buffer_load_dword v47, s[4:7], 0 offen lds                 // 000000003228: E0511000 8001002F
	v_mfma_f32_16x16x32_fp8_fp8 v[84:87], a[6:7], a[86:87], v[84:87]// 000000003230: D3F30054 1D52AD06
	ds_read_b128 a[132:135], v50 offset:14528                  // 000000003238: DBFE38C0 84000032
	v_mul_f32_e32 v4, v184, v152                               // 000000003240: 0A0931B8
	v_mov_b32_e32 v5, v4                                       // 000000003244: 7E0A0304
	v_mfma_f32_16x16x32_fp8_fp8 v[88:91], a[8:9], a[80:81], 0  // 000000003248: D3F30058 1A02A108
	v_mfma_f32_16x16x32_fp8_fp8 v[88:91], a[10:11], a[82:83], v[88:91]// 000000003250: D3F30058 1D62A50A
	buffer_load_dword v152, v191, s[20:23], 0 offen            // 000000003258: E0501000 800598BF
	v_mfma_f32_16x16x32_fp8_fp8 v[88:91], a[12:13], a[84:85], v[88:91]// 000000003260: D3F30058 1D62A90C
	v_mfma_f32_16x16x32_fp8_fp8 v[88:91], a[14:15], a[86:87], v[88:91]// 000000003268: D3F30058 1D62AD0E
	v_pk_fma_f32 v[132:133], v[4:5], v[84:85], v[132:133]      // 000000003270: D3B04084 1E12A904
	v_pk_fma_f32 v[134:135], v[4:5], v[86:87], v[134:135]      // 000000003278: D3B04086 1E1AAD04
	v_pk_fma_f32 v[136:137], v[4:5], v[88:89], v[136:137]      // 000000003280: D3B04088 1E22B104
	v_pk_fma_f32 v[138:139], v[4:5], v[90:91], v[138:139]      // 000000003288: D3B0408A 1E2AB504
	v_mfma_f32_16x16x32_fp8_fp8 v[92:95], a[0:1], a[88:89], 0  // 000000003290: D3F3005C 1A02B100
	s_add_u32 m0, 0xa00, s58                                   // 000000003298: 807C3AFF 00000A00
	buffer_load_dword v48, s[4:7], 0 offen lds                 // 0000000032A0: E0511000 80010030
	v_mfma_f32_16x16x32_fp8_fp8 v[92:95], a[2:3], a[90:91], v[92:95]// 0000000032A8: D3F3005C 1D72B502
	ds_read_b128 a[136:139], v50 offset:14976                  // 0000000032B0: DBFE3A80 88000032
	v_mfma_f32_16x16x32_fp8_fp8 v[92:95], a[4:5], a[92:93], v[92:95]// 0000000032B8: D3F3005C 1D72B904
	s_add_u32 m0, 0xb00, s58                                   // 0000000032C0: 807C3AFF 00000B00
	buffer_load_dword v49, s[4:7], 0 offen lds                 // 0000000032C8: E0511000 80010031
	v_mfma_f32_16x16x32_fp8_fp8 v[92:95], a[6:7], a[94:95], v[92:95]// 0000000032D0: D3F3005C 1D72BD06
	ds_read_b128 a[140:143], v50 offset:15040                  // 0000000032D8: DBFE3AC0 8C000032
	v_mul_f32_e32 v4, v184, v153                               // 0000000032E0: 0A0933B8
	v_mov_b32_e32 v5, v4                                       // 0000000032E4: 7E0A0304
	v_mfma_f32_16x16x32_fp8_fp8 v[96:99], a[8:9], a[88:89], 0  // 0000000032E8: D3F30060 1A02B108
	v_mfma_f32_16x16x32_fp8_fp8 v[96:99], a[10:11], a[90:91], v[96:99]// 0000000032F0: D3F30060 1D82B50A
	buffer_load_dword v153, v192, s[20:23], 0 offen            // 0000000032F8: E0501000 800599C0
	s_add_u32 s50, 0x200, s42                                  // 000000003300: 80322AFF 00000200
	s_cmp_lt_u32 s50, s43                                      // 000000003308: BF0A2B32
	s_cselect_b32 s54, s54, 0                                  // 00000000330C: 85368036
	s_add_u32 s50, 0x180, s42                                  // 000000003310: 80322AFF 00000180
	s_cmp_lt_u32 s50, s43                                      // 000000003318: BF0A2B32
	s_cselect_b32 s55, s55, 0                                  // 00000000331C: 85378037
	s_add_u32 s50, 0x200, s42                                  // 000000003320: 80322AFF 00000200
	s_cmp_lt_u32 s50, s43                                      // 000000003328: BF0A2B32
	s_cselect_b32 s56, s56, 0                                  // 00000000332C: 85388038
	s_add_u32 s50, 0x180, s42                                  // 000000003330: 80322AFF 00000180
	s_cmp_lt_u32 s50, s43                                      // 000000003338: BF0A2B32
	s_cselect_b32 s57, s57, 0                                  // 00000000333C: 85398039
	v_mfma_f32_16x16x32_fp8_fp8 v[96:99], a[12:13], a[92:93], v[96:99]// 000000003340: D3F30060 1D82B90C
	v_mfma_f32_16x16x32_fp8_fp8 v[96:99], a[14:15], a[94:95], v[96:99]// 000000003348: D3F30060 1D82BD0E
	buffer_load_dword v186, v199, s[24:27], 0 offen            // 000000003350: E0501000 8006BAC7
	s_add_u32 s4, s54, s4                                      // 000000003358: 80040436
	s_addc_u32 s5, 0, s5                                       // 00000000335C: 82050580
	s_sub_u32 s6, s6, s54                                      // 000000003360: 80863606
	s_add_u32 s8, s55, s8                                      // 000000003364: 80080837
	s_addc_u32 s9, 0, s9                                       // 000000003368: 82090980
	s_sub_u32 s10, s10, s55                                    // 00000000336C: 808A370A
	s_add_u32 s20, s56, s20                                    // 000000003370: 80141438
	s_addc_u32 s21, 0, s21                                     // 000000003374: 82151580
	s_add_u32 s24, s57, s24                                    // 000000003378: 80181839
	s_addc_u32 s25, 0, s25                                     // 00000000337C: 82191980
	s_sub_u32 s26, s26, s57                                    // 000000003380: 809A391A
	v_pk_fma_f32 v[140:141], v[4:5], v[92:93], v[140:141]      // 000000003384: D3B0408C 1E32B904
	v_pk_fma_f32 v[142:143], v[4:5], v[94:95], v[142:143]      // 00000000338C: D3B0408E 1E3ABD04
	v_pk_fma_f32 v[144:145], v[4:5], v[96:97], v[144:145]      // 000000003394: D3B04090 1E42C104
	v_pk_fma_f32 v[146:147], v[4:5], v[98:99], v[146:147]      // 00000000339C: D3B04092 1E4AC504
	s_addk_i32 s42, 0x80                                       // 0000000033A4: B72A0080
	s_cmp_lt_i32 s42, s43                                      // 0000000033A8: BF042B2A
	s_cbranch_scc0 label_09AA                                  // 0000000033AC: BF84057E
	s_waitcnt vmcnt(22) lgkmcnt(0)                             // 0000000033B0: BF8C4076
	s_barrier                                                  // 0000000033B4: BF8A0000
	v_mfma_f32_16x16x32_fp8_fp8 v[52:55], a[16:17], a[96:97], 0// 0000000033B8: D3F30034 1A02C110
	s_add_u32 m0, 0, s59                                       // 0000000033C0: 807C3B80
	buffer_load_dword v38, s[4:7], 0 offen lds                 // 0000000033C4: E0511000 80010026
	v_mfma_f32_16x16x32_fp8_fp8 v[52:55], a[18:19], a[98:99], v[52:55]// 0000000033CC: D3F30034 1CD2C512
	ds_read_b128 a[48:51], v50 offset:24832                    // 0000000033D4: DBFE6100 30000032
	v_mfma_f32_16x16x32_fp8_fp8 v[52:55], a[20:21], a[100:101], v[52:55]// 0000000033DC: D3F30034 1CD2C914
	s_add_u32 m0, 0x100, s59                                   // 0000000033E4: 807C3BFF 00000100
	buffer_load_dword v39, s[4:7], 0 offen lds                 // 0000000033EC: E0511000 80010027
	v_mfma_f32_16x16x32_fp8_fp8 v[52:55], a[22:23], a[102:103], v[52:55]// 0000000033F4: D3F30034 1CD2CD16
	ds_read_b128 a[52:55], v50 offset:24896                    // 0000000033FC: DBFE6140 34000032
	v_mul_f32_e32 v4, v185, v154                               // 000000003404: 0A0935B9
	v_mov_b32_e32 v5, v4                                       // 000000003408: 7E0A0304
	v_mfma_f32_16x16x32_fp8_fp8 v[56:59], a[24:25], a[96:97], 0// 00000000340C: D3F30038 1A02C118
	buffer_load_dwordx4 a[0:3], v34, s[8:11], 0 offen          // 000000003414: E05C1000 80820022
	v_mfma_f32_16x16x32_fp8_fp8 v[56:59], a[26:27], a[98:99], v[56:59]// 00000000341C: D3F30038 1CE2C51A
	buffer_load_dword v154, v187, s[20:23], 0 offen            // 000000003424: E0501000 80059ABB
	v_mfma_f32_16x16x32_fp8_fp8 v[56:59], a[28:29], a[100:101], v[56:59]// 00000000342C: D3F30038 1CE2C91C
	buffer_load_dwordx4 a[4:7], v35, s[8:11], 0 offen          // 000000003434: E05C1000 80820423
	v_mfma_f32_16x16x32_fp8_fp8 v[56:59], a[30:31], a[102:103], v[56:59]// 00000000343C: D3F30038 1CE2CD1E
	v_pk_fma_f32 v[100:101], v[4:5], v[52:53], v[100:101]      // 000000003444: D3B04064 1D926904
	v_pk_fma_f32 v[102:103], v[4:5], v[54:55], v[102:103]      // 00000000344C: D3B04066 1D9A6D04
	v_pk_fma_f32 v[104:105], v[4:5], v[56:57], v[104:105]      // 000000003454: D3B04068 1DA27104
	v_pk_fma_f32 v[106:107], v[4:5], v[58:59], v[106:107]      // 00000000345C: D3B0406A 1DAA7504
	v_mfma_f32_16x16x32_fp8_fp8 v[60:63], a[16:17], a[104:105], 0// 000000003464: D3F3003C 1A02D110
	s_add_u32 m0, 0x200, s59                                   // 00000000346C: 807C3BFF 00000200
	buffer_load_dword v40, s[4:7], 0 offen lds                 // 000000003474: E0511000 80010028
	v_mfma_f32_16x16x32_fp8_fp8 v[60:63], a[18:19], a[106:107], v[60:63]// 00000000347C: D3F3003C 1CF2D512
	ds_read_b128 a[56:59], v50 offset:25344                    // 000000003484: DBFE6300 38000032
	v_mfma_f32_16x16x32_fp8_fp8 v[60:63], a[20:21], a[108:109], v[60:63]// 00000000348C: D3F3003C 1CF2D914
	s_add_u32 m0, 0x300, s59                                   // 000000003494: 807C3BFF 00000300
	buffer_load_dword v41, s[4:7], 0 offen lds                 // 00000000349C: E0511000 80010029
	v_mfma_f32_16x16x32_fp8_fp8 v[60:63], a[22:23], a[110:111], v[60:63]// 0000000034A4: D3F3003C 1CF2DD16
	ds_read_b128 a[60:63], v50 offset:25408                    // 0000000034AC: DBFE6340 3C000032
	v_mul_f32_e32 v4, v185, v155                               // 0000000034B4: 0A0937B9
	v_mov_b32_e32 v5, v4                                       // 0000000034B8: 7E0A0304
	v_mfma_f32_16x16x32_fp8_fp8 v[64:67], a[24:25], a[104:105], 0// 0000000034BC: D3F30040 1A02D118
	buffer_load_dwordx4 a[8:11], v36, s[8:11], 0 offen         // 0000000034C4: E05C1000 80820824
	v_mfma_f32_16x16x32_fp8_fp8 v[64:67], a[26:27], a[106:107], v[64:67]// 0000000034CC: D3F30040 1D02D51A
	buffer_load_dword v155, v188, s[20:23], 0 offen            // 0000000034D4: E0501000 80059BBC
	v_mfma_f32_16x16x32_fp8_fp8 v[64:67], a[28:29], a[108:109], v[64:67]// 0000000034DC: D3F30040 1D02D91C
	buffer_load_dwordx4 a[12:15], v37, s[8:11], 0 offen        // 0000000034E4: E05C1000 80820C25
	v_mfma_f32_16x16x32_fp8_fp8 v[64:67], a[30:31], a[110:111], v[64:67]// 0000000034EC: D3F30040 1D02DD1E
	v_pk_fma_f32 v[108:109], v[4:5], v[60:61], v[108:109]      // 0000000034F4: D3B0406C 1DB27904
	v_pk_fma_f32 v[110:111], v[4:5], v[62:63], v[110:111]      // 0000000034FC: D3B0406E 1DBA7D04
	v_pk_fma_f32 v[112:113], v[4:5], v[64:65], v[112:113]      // 000000003504: D3B04070 1DC28104
	v_pk_fma_f32 v[114:115], v[4:5], v[66:67], v[114:115]      // 00000000350C: D3B04072 1DCA8504
	v_mfma_f32_16x16x32_fp8_fp8 v[68:71], a[16:17], a[112:113], 0// 000000003514: D3F30044 1A02E110
	s_add_u32 m0, 0x400, s59                                   // 00000000351C: 807C3BFF 00000400
	buffer_load_dword v42, s[4:7], 0 offen lds                 // 000000003524: E0511000 8001002A
	v_mfma_f32_16x16x32_fp8_fp8 v[68:71], a[18:19], a[114:115], v[68:71]// 00000000352C: D3F30044 1D12E512
	ds_read_b128 a[64:67], v50 offset:25856                    // 000000003534: DBFE6500 40000032
	v_mfma_f32_16x16x32_fp8_fp8 v[68:71], a[20:21], a[116:117], v[68:71]// 00000000353C: D3F30044 1D12E914
	s_add_u32 m0, 0x500, s59                                   // 000000003544: 807C3BFF 00000500
	buffer_load_dword v43, s[4:7], 0 offen lds                 // 00000000354C: E0511000 8001002B
	v_mfma_f32_16x16x32_fp8_fp8 v[68:71], a[22:23], a[118:119], v[68:71]// 000000003554: D3F30044 1D12ED16
	ds_read_b128 a[68:71], v50 offset:25920                    // 00000000355C: DBFE6540 44000032
	v_mul_f32_e32 v4, v185, v156                               // 000000003564: 0A0939B9
	v_mov_b32_e32 v5, v4                                       // 000000003568: 7E0A0304
	v_mfma_f32_16x16x32_fp8_fp8 v[72:75], a[24:25], a[112:113], 0// 00000000356C: D3F30048 1A02E118
	v_mfma_f32_16x16x32_fp8_fp8 v[72:75], a[26:27], a[114:115], v[72:75]// 000000003574: D3F30048 1D22E51A
	buffer_load_dword v156, v189, s[20:23], 0 offen            // 00000000357C: E0501000 80059CBD
	v_mfma_f32_16x16x32_fp8_fp8 v[72:75], a[28:29], a[116:117], v[72:75]// 000000003584: D3F30048 1D22E91C
	v_mfma_f32_16x16x32_fp8_fp8 v[72:75], a[30:31], a[118:119], v[72:75]// 00000000358C: D3F30048 1D22ED1E
	v_pk_fma_f32 v[116:117], v[4:5], v[68:69], v[116:117]      // 000000003594: D3B04074 1DD28904
	v_pk_fma_f32 v[118:119], v[4:5], v[70:71], v[118:119]      // 00000000359C: D3B04076 1DDA8D04
	v_pk_fma_f32 v[120:121], v[4:5], v[72:73], v[120:121]      // 0000000035A4: D3B04078 1DE29104
	v_pk_fma_f32 v[122:123], v[4:5], v[74:75], v[122:123]      // 0000000035AC: D3B0407A 1DEA9504
	v_mfma_f32_16x16x32_fp8_fp8 v[76:79], a[16:17], a[120:121], 0// 0000000035B4: D3F3004C 1A02F110
	s_add_u32 m0, 0x600, s59                                   // 0000000035BC: 807C3BFF 00000600
	buffer_load_dword v44, s[4:7], 0 offen lds                 // 0000000035C4: E0511000 8001002C
	v_mfma_f32_16x16x32_fp8_fp8 v[76:79], a[18:19], a[122:123], v[76:79]// 0000000035CC: D3F3004C 1D32F512
	ds_read_b128 a[72:75], v50 offset:26368                    // 0000000035D4: DBFE6700 48000032
	v_mfma_f32_16x16x32_fp8_fp8 v[76:79], a[20:21], a[124:125], v[76:79]// 0000000035DC: D3F3004C 1D32F914
	s_add_u32 m0, 0x700, s59                                   // 0000000035E4: 807C3BFF 00000700
	buffer_load_dword v45, s[4:7], 0 offen lds                 // 0000000035EC: E0511000 8001002D
	v_mfma_f32_16x16x32_fp8_fp8 v[76:79], a[22:23], a[126:127], v[76:79]// 0000000035F4: D3F3004C 1D32FD16
	ds_read_b128 a[76:79], v50 offset:26432                    // 0000000035FC: DBFE6740 4C000032
	v_mul_f32_e32 v4, v185, v157                               // 000000003604: 0A093BB9
	v_mov_b32_e32 v5, v4                                       // 000000003608: 7E0A0304
	v_mfma_f32_16x16x32_fp8_fp8 v[80:83], a[24:25], a[120:121], 0// 00000000360C: D3F30050 1A02F118
	v_mfma_f32_16x16x32_fp8_fp8 v[80:83], a[26:27], a[122:123], v[80:83]// 000000003614: D3F30050 1D42F51A
	buffer_load_dword v157, v190, s[20:23], 0 offen            // 00000000361C: E0501000 80059DBE
	v_mfma_f32_16x16x32_fp8_fp8 v[80:83], a[28:29], a[124:125], v[80:83]// 000000003624: D3F30050 1D42F91C
	v_mfma_f32_16x16x32_fp8_fp8 v[80:83], a[30:31], a[126:127], v[80:83]// 00000000362C: D3F30050 1D42FD1E
	v_pk_fma_f32 v[124:125], v[4:5], v[76:77], v[124:125]      // 000000003634: D3B0407C 1DF29904
	v_pk_fma_f32 v[126:127], v[4:5], v[78:79], v[126:127]      // 00000000363C: D3B0407E 1DFA9D04
	v_pk_fma_f32 v[128:129], v[4:5], v[80:81], v[128:129]      // 000000003644: D3B04080 1E02A104
	v_pk_fma_f32 v[130:131], v[4:5], v[82:83], v[130:131]      // 00000000364C: D3B04082 1E0AA504
	v_mfma_f32_16x16x32_fp8_fp8 v[84:87], a[16:17], a[128:129], 0// 000000003654: D3F30054 1A030110
	s_add_u32 m0, 0x800, s59                                   // 00000000365C: 807C3BFF 00000800
	buffer_load_dword v46, s[4:7], 0 offen lds                 // 000000003664: E0511000 8001002E
	v_mfma_f32_16x16x32_fp8_fp8 v[84:87], a[18:19], a[130:131], v[84:87]// 00000000366C: D3F30054 1D530512
	ds_read_b128 a[80:83], v50 offset:26880                    // 000000003674: DBFE6900 50000032
	v_mfma_f32_16x16x32_fp8_fp8 v[84:87], a[20:21], a[132:133], v[84:87]// 00000000367C: D3F30054 1D530914
	s_add_u32 m0, 0x900, s59                                   // 000000003684: 807C3BFF 00000900
	buffer_load_dword v47, s[4:7], 0 offen lds                 // 00000000368C: E0511000 8001002F
	v_mfma_f32_16x16x32_fp8_fp8 v[84:87], a[22:23], a[134:135], v[84:87]// 000000003694: D3F30054 1D530D16
	ds_read_b128 a[84:87], v50 offset:26944                    // 00000000369C: DBFE6940 54000032
	v_mul_f32_e32 v4, v185, v158                               // 0000000036A4: 0A093DB9
	v_mov_b32_e32 v5, v4                                       // 0000000036A8: 7E0A0304
	v_mfma_f32_16x16x32_fp8_fp8 v[88:91], a[24:25], a[128:129], 0// 0000000036AC: D3F30058 1A030118
	v_mfma_f32_16x16x32_fp8_fp8 v[88:91], a[26:27], a[130:131], v[88:91]// 0000000036B4: D3F30058 1D63051A
	buffer_load_dword v158, v191, s[20:23], 0 offen            // 0000000036BC: E0501000 80059EBF
	v_mfma_f32_16x16x32_fp8_fp8 v[88:91], a[28:29], a[132:133], v[88:91]// 0000000036C4: D3F30058 1D63091C
	v_mfma_f32_16x16x32_fp8_fp8 v[88:91], a[30:31], a[134:135], v[88:91]// 0000000036CC: D3F30058 1D630D1E
	v_pk_fma_f32 v[132:133], v[4:5], v[84:85], v[132:133]      // 0000000036D4: D3B04084 1E12A904
	v_pk_fma_f32 v[134:135], v[4:5], v[86:87], v[134:135]      // 0000000036DC: D3B04086 1E1AAD04
	v_pk_fma_f32 v[136:137], v[4:5], v[88:89], v[136:137]      // 0000000036E4: D3B04088 1E22B104
	v_pk_fma_f32 v[138:139], v[4:5], v[90:91], v[138:139]      // 0000000036EC: D3B0408A 1E2AB504
	v_mfma_f32_16x16x32_fp8_fp8 v[92:95], a[16:17], a[136:137], 0// 0000000036F4: D3F3005C 1A031110
	s_add_u32 m0, 0xa00, s59                                   // 0000000036FC: 807C3BFF 00000A00
	buffer_load_dword v48, s[4:7], 0 offen lds                 // 000000003704: E0511000 80010030
	v_mfma_f32_16x16x32_fp8_fp8 v[92:95], a[18:19], a[138:139], v[92:95]// 00000000370C: D3F3005C 1D731512
	ds_read_b128 a[88:91], v50 offset:27392                    // 000000003714: DBFE6B00 58000032
	v_mfma_f32_16x16x32_fp8_fp8 v[92:95], a[20:21], a[140:141], v[92:95]// 00000000371C: D3F3005C 1D731914
	s_add_u32 m0, 0xb00, s59                                   // 000000003724: 807C3BFF 00000B00
	buffer_load_dword v49, s[4:7], 0 offen lds                 // 00000000372C: E0511000 80010031
	v_mfma_f32_16x16x32_fp8_fp8 v[92:95], a[22:23], a[142:143], v[92:95]// 000000003734: D3F3005C 1D731D16
	ds_read_b128 a[92:95], v50 offset:27456                    // 00000000373C: DBFE6B40 5C000032
	v_mul_f32_e32 v4, v185, v159                               // 000000003744: 0A093FB9
	v_mov_b32_e32 v5, v4                                       // 000000003748: 7E0A0304
	v_mfma_f32_16x16x32_fp8_fp8 v[96:99], a[24:25], a[136:137], 0// 00000000374C: D3F30060 1A031118
	v_mfma_f32_16x16x32_fp8_fp8 v[96:99], a[26:27], a[138:139], v[96:99]// 000000003754: D3F30060 1D83151A
	buffer_load_dword v159, v192, s[20:23], 0 offen            // 00000000375C: E0501000 80059FC0
	s_add_u32 s50, 0x200, s42                                  // 000000003764: 80322AFF 00000200
	s_cmp_lt_u32 s50, s43                                      // 00000000376C: BF0A2B32
	s_cselect_b32 s54, s54, 0                                  // 000000003770: 85368036
	s_add_u32 s50, 0x180, s42                                  // 000000003774: 80322AFF 00000180
	s_cmp_lt_u32 s50, s43                                      // 00000000377C: BF0A2B32
	s_cselect_b32 s55, s55, 0                                  // 000000003780: 85378037
	s_add_u32 s50, 0x200, s42                                  // 000000003784: 80322AFF 00000200
	s_cmp_lt_u32 s50, s43                                      // 00000000378C: BF0A2B32
	s_cselect_b32 s56, s56, 0                                  // 000000003790: 85388038
	s_add_u32 s50, 0x180, s42                                  // 000000003794: 80322AFF 00000180
	s_cmp_lt_u32 s50, s43                                      // 00000000379C: BF0A2B32
	s_cselect_b32 s57, s57, 0                                  // 0000000037A0: 85398039
	v_mfma_f32_16x16x32_fp8_fp8 v[96:99], a[28:29], a[140:141], v[96:99]// 0000000037A4: D3F30060 1D83191C
	v_mfma_f32_16x16x32_fp8_fp8 v[96:99], a[30:31], a[142:143], v[96:99]// 0000000037AC: D3F30060 1D831D1E
	buffer_load_dword v184, v199, s[24:27], 0 offen            // 0000000037B4: E0501000 8006B8C7
	s_add_u32 s4, s54, s4                                      // 0000000037BC: 80040436
	s_addc_u32 s5, 0, s5                                       // 0000000037C0: 82050580
	s_sub_u32 s6, s6, s54                                      // 0000000037C4: 80863606
	s_add_u32 s8, s55, s8                                      // 0000000037C8: 80080837
	s_addc_u32 s9, 0, s9                                       // 0000000037CC: 82090980
	s_sub_u32 s10, s10, s55                                    // 0000000037D0: 808A370A
	s_add_u32 s20, s56, s20                                    // 0000000037D4: 80141438
	s_addc_u32 s21, 0, s21                                     // 0000000037D8: 82151580
	s_add_u32 s24, s57, s24                                    // 0000000037DC: 80181839
	s_addc_u32 s25, 0, s25                                     // 0000000037E0: 82191980
	s_sub_u32 s26, s26, s57                                    // 0000000037E4: 809A391A
	v_pk_fma_f32 v[140:141], v[4:5], v[92:93], v[140:141]      // 0000000037E8: D3B0408C 1E32B904
	v_pk_fma_f32 v[142:143], v[4:5], v[94:95], v[142:143]      // 0000000037F0: D3B0408E 1E3ABD04
	v_pk_fma_f32 v[144:145], v[4:5], v[96:97], v[144:145]      // 0000000037F8: D3B04090 1E42C104
	v_pk_fma_f32 v[146:147], v[4:5], v[98:99], v[146:147]      // 000000003800: D3B04092 1E4AC504
	s_addk_i32 s42, 0x80                                       // 000000003808: B72A0080
	s_cmp_lt_i32 s42, s43                                      // 00000000380C: BF042B2A
	s_cbranch_scc0 label_09AA                                  // 000000003810: BF840465
	s_waitcnt vmcnt(22) lgkmcnt(0)                             // 000000003814: BF8C4076
	s_barrier                                                  // 000000003818: BF8A0000
	v_mfma_f32_16x16x32_fp8_fp8 v[52:55], a[32:33], a[48:49], 0// 00000000381C: D3F30034 1A026120
	s_add_u32 m0, 0, s60                                       // 000000003824: 807C3C80
	buffer_load_dword v38, s[4:7], 0 offen lds                 // 000000003828: E0511000 80010026
	v_mfma_f32_16x16x32_fp8_fp8 v[52:55], a[34:35], a[50:51], v[52:55]// 000000003830: D3F30034 1CD26522
	ds_read_b128 a[96:99], v50                                 // 000000003838: DBFE0000 60000032
	v_mfma_f32_16x16x32_fp8_fp8 v[52:55], a[36:37], a[52:53], v[52:55]// 000000003840: D3F30034 1CD26924
	s_add_u32 m0, 0x100, s60                                   // 000000003848: 807C3CFF 00000100
	buffer_load_dword v39, s[4:7], 0 offen lds                 // 000000003850: E0511000 80010027
	v_mfma_f32_16x16x32_fp8_fp8 v[52:55], a[38:39], a[54:55], v[52:55]// 000000003858: D3F30034 1CD26D26
	ds_read_b128 a[100:103], v50 offset:64                     // 000000003860: DBFE0040 64000032
	v_mul_f32_e32 v4, v186, v160                               // 000000003868: 0A0941BA
	v_mov_b32_e32 v5, v4                                       // 00000000386C: 7E0A0304
	v_mfma_f32_16x16x32_fp8_fp8 v[56:59], a[40:41], a[48:49], 0// 000000003870: D3F30038 1A026128
	buffer_load_dwordx4 a[16:19], v34, s[8:11], 0 offen        // 000000003878: E05C1000 80821022
	v_mfma_f32_16x16x32_fp8_fp8 v[56:59], a[42:43], a[50:51], v[56:59]// 000000003880: D3F30038 1CE2652A
	buffer_load_dword v160, v187, s[20:23], 0 offen            // 000000003888: E0501000 8005A0BB
	v_mfma_f32_16x16x32_fp8_fp8 v[56:59], a[44:45], a[52:53], v[56:59]// 000000003890: D3F30038 1CE2692C
	buffer_load_dwordx4 a[20:23], v35, s[8:11], 0 offen        // 000000003898: E05C1000 80821423
	v_mfma_f32_16x16x32_fp8_fp8 v[56:59], a[46:47], a[54:55], v[56:59]// 0000000038A0: D3F30038 1CE26D2E
	v_pk_fma_f32 v[100:101], v[4:5], v[52:53], v[100:101]      // 0000000038A8: D3B04064 1D926904
	v_pk_fma_f32 v[102:103], v[4:5], v[54:55], v[102:103]      // 0000000038B0: D3B04066 1D9A6D04
	v_pk_fma_f32 v[104:105], v[4:5], v[56:57], v[104:105]      // 0000000038B8: D3B04068 1DA27104
	v_pk_fma_f32 v[106:107], v[4:5], v[58:59], v[106:107]      // 0000000038C0: D3B0406A 1DAA7504
	v_mfma_f32_16x16x32_fp8_fp8 v[60:63], a[32:33], a[56:57], 0// 0000000038C8: D3F3003C 1A027120
	s_add_u32 m0, 0x200, s60                                   // 0000000038D0: 807C3CFF 00000200
	buffer_load_dword v40, s[4:7], 0 offen lds                 // 0000000038D8: E0511000 80010028
	v_mfma_f32_16x16x32_fp8_fp8 v[60:63], a[34:35], a[58:59], v[60:63]// 0000000038E0: D3F3003C 1CF27522
	ds_read_b128 a[104:107], v50 offset:512                    // 0000000038E8: DBFE0200 68000032
	v_mfma_f32_16x16x32_fp8_fp8 v[60:63], a[36:37], a[60:61], v[60:63]// 0000000038F0: D3F3003C 1CF27924
	s_add_u32 m0, 0x300, s60                                   // 0000000038F8: 807C3CFF 00000300
	buffer_load_dword v41, s[4:7], 0 offen lds                 // 000000003900: E0511000 80010029
	v_mfma_f32_16x16x32_fp8_fp8 v[60:63], a[38:39], a[62:63], v[60:63]// 000000003908: D3F3003C 1CF27D26
	ds_read_b128 a[108:111], v50 offset:576                    // 000000003910: DBFE0240 6C000032
	v_mul_f32_e32 v4, v186, v161                               // 000000003918: 0A0943BA
	v_mov_b32_e32 v5, v4                                       // 00000000391C: 7E0A0304
	v_mfma_f32_16x16x32_fp8_fp8 v[64:67], a[40:41], a[56:57], 0// 000000003920: D3F30040 1A027128
	buffer_load_dwordx4 a[24:27], v36, s[8:11], 0 offen        // 000000003928: E05C1000 80821824
	v_mfma_f32_16x16x32_fp8_fp8 v[64:67], a[42:43], a[58:59], v[64:67]// 000000003930: D3F30040 1D02752A
	buffer_load_dword v161, v188, s[20:23], 0 offen            // 000000003938: E0501000 8005A1BC
	v_mfma_f32_16x16x32_fp8_fp8 v[64:67], a[44:45], a[60:61], v[64:67]// 000000003940: D3F30040 1D02792C
	buffer_load_dwordx4 a[28:31], v37, s[8:11], 0 offen        // 000000003948: E05C1000 80821C25
	v_mfma_f32_16x16x32_fp8_fp8 v[64:67], a[46:47], a[62:63], v[64:67]// 000000003950: D3F30040 1D027D2E
	v_pk_fma_f32 v[108:109], v[4:5], v[60:61], v[108:109]      // 000000003958: D3B0406C 1DB27904
	v_pk_fma_f32 v[110:111], v[4:5], v[62:63], v[110:111]      // 000000003960: D3B0406E 1DBA7D04
	v_pk_fma_f32 v[112:113], v[4:5], v[64:65], v[112:113]      // 000000003968: D3B04070 1DC28104
	v_pk_fma_f32 v[114:115], v[4:5], v[66:67], v[114:115]      // 000000003970: D3B04072 1DCA8504
	v_mfma_f32_16x16x32_fp8_fp8 v[68:71], a[32:33], a[64:65], 0// 000000003978: D3F30044 1A028120
	s_add_u32 m0, 0x400, s60                                   // 000000003980: 807C3CFF 00000400
	buffer_load_dword v42, s[4:7], 0 offen lds                 // 000000003988: E0511000 8001002A
	v_mfma_f32_16x16x32_fp8_fp8 v[68:71], a[34:35], a[66:67], v[68:71]// 000000003990: D3F30044 1D128522
	ds_read_b128 a[112:115], v50 offset:1024                   // 000000003998: DBFE0400 70000032
	v_mfma_f32_16x16x32_fp8_fp8 v[68:71], a[36:37], a[68:69], v[68:71]// 0000000039A0: D3F30044 1D128924
	s_add_u32 m0, 0x500, s60                                   // 0000000039A8: 807C3CFF 00000500
	buffer_load_dword v43, s[4:7], 0 offen lds                 // 0000000039B0: E0511000 8001002B
	v_mfma_f32_16x16x32_fp8_fp8 v[68:71], a[38:39], a[70:71], v[68:71]// 0000000039B8: D3F30044 1D128D26
	ds_read_b128 a[116:119], v50 offset:1088                   // 0000000039C0: DBFE0440 74000032
	v_mul_f32_e32 v4, v186, v162                               // 0000000039C8: 0A0945BA
	v_mov_b32_e32 v5, v4                                       // 0000000039CC: 7E0A0304
	v_mfma_f32_16x16x32_fp8_fp8 v[72:75], a[40:41], a[64:65], 0// 0000000039D0: D3F30048 1A028128
	v_mfma_f32_16x16x32_fp8_fp8 v[72:75], a[42:43], a[66:67], v[72:75]// 0000000039D8: D3F30048 1D22852A
	buffer_load_dword v162, v189, s[20:23], 0 offen            // 0000000039E0: E0501000 8005A2BD
	v_mfma_f32_16x16x32_fp8_fp8 v[72:75], a[44:45], a[68:69], v[72:75]// 0000000039E8: D3F30048 1D22892C
	v_mfma_f32_16x16x32_fp8_fp8 v[72:75], a[46:47], a[70:71], v[72:75]// 0000000039F0: D3F30048 1D228D2E
	v_pk_fma_f32 v[116:117], v[4:5], v[68:69], v[116:117]      // 0000000039F8: D3B04074 1DD28904
	v_pk_fma_f32 v[118:119], v[4:5], v[70:71], v[118:119]      // 000000003A00: D3B04076 1DDA8D04
	v_pk_fma_f32 v[120:121], v[4:5], v[72:73], v[120:121]      // 000000003A08: D3B04078 1DE29104
	v_pk_fma_f32 v[122:123], v[4:5], v[74:75], v[122:123]      // 000000003A10: D3B0407A 1DEA9504
	v_mfma_f32_16x16x32_fp8_fp8 v[76:79], a[32:33], a[72:73], 0// 000000003A18: D3F3004C 1A029120
	s_add_u32 m0, 0x600, s60                                   // 000000003A20: 807C3CFF 00000600
	buffer_load_dword v44, s[4:7], 0 offen lds                 // 000000003A28: E0511000 8001002C
	v_mfma_f32_16x16x32_fp8_fp8 v[76:79], a[34:35], a[74:75], v[76:79]// 000000003A30: D3F3004C 1D329522
	ds_read_b128 a[120:123], v50 offset:1536                   // 000000003A38: DBFE0600 78000032
	v_mfma_f32_16x16x32_fp8_fp8 v[76:79], a[36:37], a[76:77], v[76:79]// 000000003A40: D3F3004C 1D329924
	s_add_u32 m0, 0x700, s60                                   // 000000003A48: 807C3CFF 00000700
	buffer_load_dword v45, s[4:7], 0 offen lds                 // 000000003A50: E0511000 8001002D
	v_mfma_f32_16x16x32_fp8_fp8 v[76:79], a[38:39], a[78:79], v[76:79]// 000000003A58: D3F3004C 1D329D26
	ds_read_b128 a[124:127], v50 offset:1600                   // 000000003A60: DBFE0640 7C000032
	v_mul_f32_e32 v4, v186, v163                               // 000000003A68: 0A0947BA
	v_mov_b32_e32 v5, v4                                       // 000000003A6C: 7E0A0304
	v_mfma_f32_16x16x32_fp8_fp8 v[80:83], a[40:41], a[72:73], 0// 000000003A70: D3F30050 1A029128
	v_mfma_f32_16x16x32_fp8_fp8 v[80:83], a[42:43], a[74:75], v[80:83]// 000000003A78: D3F30050 1D42952A
	buffer_load_dword v163, v190, s[20:23], 0 offen            // 000000003A80: E0501000 8005A3BE
	v_mfma_f32_16x16x32_fp8_fp8 v[80:83], a[44:45], a[76:77], v[80:83]// 000000003A88: D3F30050 1D42992C
	v_mfma_f32_16x16x32_fp8_fp8 v[80:83], a[46:47], a[78:79], v[80:83]// 000000003A90: D3F30050 1D429D2E
	v_pk_fma_f32 v[124:125], v[4:5], v[76:77], v[124:125]      // 000000003A98: D3B0407C 1DF29904
	v_pk_fma_f32 v[126:127], v[4:5], v[78:79], v[126:127]      // 000000003AA0: D3B0407E 1DFA9D04
	v_pk_fma_f32 v[128:129], v[4:5], v[80:81], v[128:129]      // 000000003AA8: D3B04080 1E02A104
	v_pk_fma_f32 v[130:131], v[4:5], v[82:83], v[130:131]      // 000000003AB0: D3B04082 1E0AA504
	v_mfma_f32_16x16x32_fp8_fp8 v[84:87], a[32:33], a[80:81], 0// 000000003AB8: D3F30054 1A02A120
	s_add_u32 m0, 0x800, s60                                   // 000000003AC0: 807C3CFF 00000800
	buffer_load_dword v46, s[4:7], 0 offen lds                 // 000000003AC8: E0511000 8001002E
	v_mfma_f32_16x16x32_fp8_fp8 v[84:87], a[34:35], a[82:83], v[84:87]// 000000003AD0: D3F30054 1D52A522
	ds_read_b128 a[128:131], v50 offset:2048                   // 000000003AD8: DBFE0800 80000032
	v_mfma_f32_16x16x32_fp8_fp8 v[84:87], a[36:37], a[84:85], v[84:87]// 000000003AE0: D3F30054 1D52A924
	s_add_u32 m0, 0x900, s60                                   // 000000003AE8: 807C3CFF 00000900
	buffer_load_dword v47, s[4:7], 0 offen lds                 // 000000003AF0: E0511000 8001002F
	v_mfma_f32_16x16x32_fp8_fp8 v[84:87], a[38:39], a[86:87], v[84:87]// 000000003AF8: D3F30054 1D52AD26
	ds_read_b128 a[132:135], v50 offset:2112                   // 000000003B00: DBFE0840 84000032
	v_mul_f32_e32 v4, v186, v164                               // 000000003B08: 0A0949BA
	v_mov_b32_e32 v5, v4                                       // 000000003B0C: 7E0A0304
	v_mfma_f32_16x16x32_fp8_fp8 v[88:91], a[40:41], a[80:81], 0// 000000003B10: D3F30058 1A02A128
	v_mfma_f32_16x16x32_fp8_fp8 v[88:91], a[42:43], a[82:83], v[88:91]// 000000003B18: D3F30058 1D62A52A
	buffer_load_dword v164, v191, s[20:23], 0 offen            // 000000003B20: E0501000 8005A4BF
	v_mfma_f32_16x16x32_fp8_fp8 v[88:91], a[44:45], a[84:85], v[88:91]// 000000003B28: D3F30058 1D62A92C
	v_mfma_f32_16x16x32_fp8_fp8 v[88:91], a[46:47], a[86:87], v[88:91]// 000000003B30: D3F30058 1D62AD2E
	v_pk_fma_f32 v[132:133], v[4:5], v[84:85], v[132:133]      // 000000003B38: D3B04084 1E12A904
	v_pk_fma_f32 v[134:135], v[4:5], v[86:87], v[134:135]      // 000000003B40: D3B04086 1E1AAD04
	v_pk_fma_f32 v[136:137], v[4:5], v[88:89], v[136:137]      // 000000003B48: D3B04088 1E22B104
	v_pk_fma_f32 v[138:139], v[4:5], v[90:91], v[138:139]      // 000000003B50: D3B0408A 1E2AB504
	v_mfma_f32_16x16x32_fp8_fp8 v[92:95], a[32:33], a[88:89], 0// 000000003B58: D3F3005C 1A02B120
	s_add_u32 m0, 0xa00, s60                                   // 000000003B60: 807C3CFF 00000A00
	buffer_load_dword v48, s[4:7], 0 offen lds                 // 000000003B68: E0511000 80010030
	v_mfma_f32_16x16x32_fp8_fp8 v[92:95], a[34:35], a[90:91], v[92:95]// 000000003B70: D3F3005C 1D72B522
	ds_read_b128 a[136:139], v50 offset:2560                   // 000000003B78: DBFE0A00 88000032
	v_mfma_f32_16x16x32_fp8_fp8 v[92:95], a[36:37], a[92:93], v[92:95]// 000000003B80: D3F3005C 1D72B924
	s_add_u32 m0, 0xb00, s60                                   // 000000003B88: 807C3CFF 00000B00
	buffer_load_dword v49, s[4:7], 0 offen lds                 // 000000003B90: E0511000 80010031
	v_mfma_f32_16x16x32_fp8_fp8 v[92:95], a[38:39], a[94:95], v[92:95]// 000000003B98: D3F3005C 1D72BD26
	ds_read_b128 a[140:143], v50 offset:2624                   // 000000003BA0: DBFE0A40 8C000032
	v_mul_f32_e32 v4, v186, v165                               // 000000003BA8: 0A094BBA
	v_mov_b32_e32 v5, v4                                       // 000000003BAC: 7E0A0304
	v_mfma_f32_16x16x32_fp8_fp8 v[96:99], a[40:41], a[88:89], 0// 000000003BB0: D3F30060 1A02B128
	v_mfma_f32_16x16x32_fp8_fp8 v[96:99], a[42:43], a[90:91], v[96:99]// 000000003BB8: D3F30060 1D82B52A
	buffer_load_dword v165, v192, s[20:23], 0 offen            // 000000003BC0: E0501000 8005A5C0
	s_add_u32 s50, 0x200, s42                                  // 000000003BC8: 80322AFF 00000200
	s_cmp_lt_u32 s50, s43                                      // 000000003BD0: BF0A2B32
	s_cselect_b32 s54, s54, 0                                  // 000000003BD4: 85368036
	s_add_u32 s50, 0x180, s42                                  // 000000003BD8: 80322AFF 00000180
	s_cmp_lt_u32 s50, s43                                      // 000000003BE0: BF0A2B32
	s_cselect_b32 s55, s55, 0                                  // 000000003BE4: 85378037
	s_add_u32 s50, 0x200, s42                                  // 000000003BE8: 80322AFF 00000200
	s_cmp_lt_u32 s50, s43                                      // 000000003BF0: BF0A2B32
	s_cselect_b32 s56, s56, 0                                  // 000000003BF4: 85388038
	s_add_u32 s50, 0x180, s42                                  // 000000003BF8: 80322AFF 00000180
	s_cmp_lt_u32 s50, s43                                      // 000000003C00: BF0A2B32
	s_cselect_b32 s57, s57, 0                                  // 000000003C04: 85398039
	v_mfma_f32_16x16x32_fp8_fp8 v[96:99], a[44:45], a[92:93], v[96:99]// 000000003C08: D3F30060 1D82B92C
	v_mfma_f32_16x16x32_fp8_fp8 v[96:99], a[46:47], a[94:95], v[96:99]// 000000003C10: D3F30060 1D82BD2E
	buffer_load_dword v185, v199, s[24:27], 0 offen            // 000000003C18: E0501000 8006B9C7
	s_add_u32 s4, s54, s4                                      // 000000003C20: 80040436
	s_addc_u32 s5, 0, s5                                       // 000000003C24: 82050580
	s_sub_u32 s6, s6, s54                                      // 000000003C28: 80863606
	s_add_u32 s8, s55, s8                                      // 000000003C2C: 80080837
	s_addc_u32 s9, 0, s9                                       // 000000003C30: 82090980
	s_sub_u32 s10, s10, s55                                    // 000000003C34: 808A370A
	s_add_u32 s20, s56, s20                                    // 000000003C38: 80141438
	s_addc_u32 s21, 0, s21                                     // 000000003C3C: 82151580
	s_add_u32 s24, s57, s24                                    // 000000003C40: 80181839
	s_addc_u32 s25, 0, s25                                     // 000000003C44: 82191980
	s_sub_u32 s26, s26, s57                                    // 000000003C48: 809A391A
	v_pk_fma_f32 v[140:141], v[4:5], v[92:93], v[140:141]      // 000000003C4C: D3B0408C 1E32B904
	v_pk_fma_f32 v[142:143], v[4:5], v[94:95], v[142:143]      // 000000003C54: D3B0408E 1E3ABD04
	v_pk_fma_f32 v[144:145], v[4:5], v[96:97], v[144:145]      // 000000003C5C: D3B04090 1E42C104
	v_pk_fma_f32 v[146:147], v[4:5], v[98:99], v[146:147]      // 000000003C64: D3B04092 1E4AC504
	s_addk_i32 s42, 0x80                                       // 000000003C6C: B72A0080
	s_cmp_lt_i32 s42, s43                                      // 000000003C70: BF042B2A
	s_cbranch_scc0 label_09AA                                  // 000000003C74: BF84034C
	s_waitcnt vmcnt(22) lgkmcnt(0)                             // 000000003C78: BF8C4076
	s_barrier                                                  // 000000003C7C: BF8A0000
	v_mfma_f32_16x16x32_fp8_fp8 v[52:55], a[0:1], a[96:97], 0  // 000000003C80: D3F30034 1A02C100
	s_add_u32 m0, 0, s58                                       // 000000003C88: 807C3A80
	buffer_load_dword v38, s[4:7], 0 offen lds                 // 000000003C8C: E0511000 80010026
	v_mfma_f32_16x16x32_fp8_fp8 v[52:55], a[2:3], a[98:99], v[52:55]// 000000003C94: D3F30034 1CD2C502
	ds_read_b128 a[48:51], v50 offset:12416                    // 000000003C9C: DBFE3080 30000032
	v_mfma_f32_16x16x32_fp8_fp8 v[52:55], a[4:5], a[100:101], v[52:55]// 000000003CA4: D3F30034 1CD2C904
	s_add_u32 m0, 0x100, s58                                   // 000000003CAC: 807C3AFF 00000100
	buffer_load_dword v39, s[4:7], 0 offen lds                 // 000000003CB4: E0511000 80010027
	v_mfma_f32_16x16x32_fp8_fp8 v[52:55], a[6:7], a[102:103], v[52:55]// 000000003CBC: D3F30034 1CD2CD06
	ds_read_b128 a[52:55], v50 offset:12480                    // 000000003CC4: DBFE30C0 34000032
	v_mul_f32_e32 v4, v184, v148                               // 000000003CCC: 0A0929B8
	v_mov_b32_e32 v5, v4                                       // 000000003CD0: 7E0A0304
	v_mfma_f32_16x16x32_fp8_fp8 v[56:59], a[8:9], a[96:97], 0  // 000000003CD4: D3F30038 1A02C108
	buffer_load_dwordx4 a[32:35], v34, s[8:11], 0 offen        // 000000003CDC: E05C1000 80822022
	v_mfma_f32_16x16x32_fp8_fp8 v[56:59], a[10:11], a[98:99], v[56:59]// 000000003CE4: D3F30038 1CE2C50A
	buffer_load_dword v148, v187, s[20:23], 0 offen            // 000000003CEC: E0501000 800594BB
	v_mfma_f32_16x16x32_fp8_fp8 v[56:59], a[12:13], a[100:101], v[56:59]// 000000003CF4: D3F30038 1CE2C90C
	buffer_load_dwordx4 a[36:39], v35, s[8:11], 0 offen        // 000000003CFC: E05C1000 80822423
	v_mfma_f32_16x16x32_fp8_fp8 v[56:59], a[14:15], a[102:103], v[56:59]// 000000003D04: D3F30038 1CE2CD0E
	v_pk_fma_f32 v[100:101], v[4:5], v[52:53], v[100:101]      // 000000003D0C: D3B04064 1D926904
	v_pk_fma_f32 v[102:103], v[4:5], v[54:55], v[102:103]      // 000000003D14: D3B04066 1D9A6D04
	v_pk_fma_f32 v[104:105], v[4:5], v[56:57], v[104:105]      // 000000003D1C: D3B04068 1DA27104
	v_pk_fma_f32 v[106:107], v[4:5], v[58:59], v[106:107]      // 000000003D24: D3B0406A 1DAA7504
	v_mfma_f32_16x16x32_fp8_fp8 v[60:63], a[0:1], a[104:105], 0// 000000003D2C: D3F3003C 1A02D100
	s_add_u32 m0, 0x200, s58                                   // 000000003D34: 807C3AFF 00000200
	buffer_load_dword v40, s[4:7], 0 offen lds                 // 000000003D3C: E0511000 80010028
	v_mfma_f32_16x16x32_fp8_fp8 v[60:63], a[2:3], a[106:107], v[60:63]// 000000003D44: D3F3003C 1CF2D502
	ds_read_b128 a[56:59], v50 offset:12928                    // 000000003D4C: DBFE3280 38000032
	v_mfma_f32_16x16x32_fp8_fp8 v[60:63], a[4:5], a[108:109], v[60:63]// 000000003D54: D3F3003C 1CF2D904
	s_add_u32 m0, 0x300, s58                                   // 000000003D5C: 807C3AFF 00000300
	buffer_load_dword v41, s[4:7], 0 offen lds                 // 000000003D64: E0511000 80010029
	v_mfma_f32_16x16x32_fp8_fp8 v[60:63], a[6:7], a[110:111], v[60:63]// 000000003D6C: D3F3003C 1CF2DD06
	ds_read_b128 a[60:63], v50 offset:12992                    // 000000003D74: DBFE32C0 3C000032
	v_mul_f32_e32 v4, v184, v149                               // 000000003D7C: 0A092BB8
	v_mov_b32_e32 v5, v4                                       // 000000003D80: 7E0A0304
	v_mfma_f32_16x16x32_fp8_fp8 v[64:67], a[8:9], a[104:105], 0// 000000003D84: D3F30040 1A02D108
	buffer_load_dwordx4 a[40:43], v36, s[8:11], 0 offen        // 000000003D8C: E05C1000 80822824
	v_mfma_f32_16x16x32_fp8_fp8 v[64:67], a[10:11], a[106:107], v[64:67]// 000000003D94: D3F30040 1D02D50A
	buffer_load_dword v149, v188, s[20:23], 0 offen            // 000000003D9C: E0501000 800595BC
	v_mfma_f32_16x16x32_fp8_fp8 v[64:67], a[12:13], a[108:109], v[64:67]// 000000003DA4: D3F30040 1D02D90C
	buffer_load_dwordx4 a[44:47], v37, s[8:11], 0 offen        // 000000003DAC: E05C1000 80822C25
	v_mfma_f32_16x16x32_fp8_fp8 v[64:67], a[14:15], a[110:111], v[64:67]// 000000003DB4: D3F30040 1D02DD0E
	v_pk_fma_f32 v[108:109], v[4:5], v[60:61], v[108:109]      // 000000003DBC: D3B0406C 1DB27904
	v_pk_fma_f32 v[110:111], v[4:5], v[62:63], v[110:111]      // 000000003DC4: D3B0406E 1DBA7D04
	v_pk_fma_f32 v[112:113], v[4:5], v[64:65], v[112:113]      // 000000003DCC: D3B04070 1DC28104
	v_pk_fma_f32 v[114:115], v[4:5], v[66:67], v[114:115]      // 000000003DD4: D3B04072 1DCA8504
	v_mfma_f32_16x16x32_fp8_fp8 v[68:71], a[0:1], a[112:113], 0// 000000003DDC: D3F30044 1A02E100
	s_add_u32 m0, 0x400, s58                                   // 000000003DE4: 807C3AFF 00000400
	buffer_load_dword v42, s[4:7], 0 offen lds                 // 000000003DEC: E0511000 8001002A
	v_mfma_f32_16x16x32_fp8_fp8 v[68:71], a[2:3], a[114:115], v[68:71]// 000000003DF4: D3F30044 1D12E502
	ds_read_b128 a[64:67], v50 offset:13440                    // 000000003DFC: DBFE3480 40000032
	v_mfma_f32_16x16x32_fp8_fp8 v[68:71], a[4:5], a[116:117], v[68:71]// 000000003E04: D3F30044 1D12E904
	s_add_u32 m0, 0x500, s58                                   // 000000003E0C: 807C3AFF 00000500
	buffer_load_dword v43, s[4:7], 0 offen lds                 // 000000003E14: E0511000 8001002B
	v_mfma_f32_16x16x32_fp8_fp8 v[68:71], a[6:7], a[118:119], v[68:71]// 000000003E1C: D3F30044 1D12ED06
	ds_read_b128 a[68:71], v50 offset:13504                    // 000000003E24: DBFE34C0 44000032
	v_mul_f32_e32 v4, v184, v150                               // 000000003E2C: 0A092DB8
	v_mov_b32_e32 v5, v4                                       // 000000003E30: 7E0A0304
	v_mfma_f32_16x16x32_fp8_fp8 v[72:75], a[8:9], a[112:113], 0// 000000003E34: D3F30048 1A02E108
	v_mfma_f32_16x16x32_fp8_fp8 v[72:75], a[10:11], a[114:115], v[72:75]// 000000003E3C: D3F30048 1D22E50A
	buffer_load_dword v150, v189, s[20:23], 0 offen            // 000000003E44: E0501000 800596BD
	v_mfma_f32_16x16x32_fp8_fp8 v[72:75], a[12:13], a[116:117], v[72:75]// 000000003E4C: D3F30048 1D22E90C
	v_mfma_f32_16x16x32_fp8_fp8 v[72:75], a[14:15], a[118:119], v[72:75]// 000000003E54: D3F30048 1D22ED0E
	v_pk_fma_f32 v[116:117], v[4:5], v[68:69], v[116:117]      // 000000003E5C: D3B04074 1DD28904
	v_pk_fma_f32 v[118:119], v[4:5], v[70:71], v[118:119]      // 000000003E64: D3B04076 1DDA8D04
	v_pk_fma_f32 v[120:121], v[4:5], v[72:73], v[120:121]      // 000000003E6C: D3B04078 1DE29104
	v_pk_fma_f32 v[122:123], v[4:5], v[74:75], v[122:123]      // 000000003E74: D3B0407A 1DEA9504
	v_mfma_f32_16x16x32_fp8_fp8 v[76:79], a[0:1], a[120:121], 0// 000000003E7C: D3F3004C 1A02F100
	s_add_u32 m0, 0x600, s58                                   // 000000003E84: 807C3AFF 00000600
	buffer_load_dword v44, s[4:7], 0 offen lds                 // 000000003E8C: E0511000 8001002C
	v_mfma_f32_16x16x32_fp8_fp8 v[76:79], a[2:3], a[122:123], v[76:79]// 000000003E94: D3F3004C 1D32F502
	ds_read_b128 a[72:75], v50 offset:13952                    // 000000003E9C: DBFE3680 48000032
	v_mfma_f32_16x16x32_fp8_fp8 v[76:79], a[4:5], a[124:125], v[76:79]// 000000003EA4: D3F3004C 1D32F904
	s_add_u32 m0, 0x700, s58                                   // 000000003EAC: 807C3AFF 00000700
	buffer_load_dword v45, s[4:7], 0 offen lds                 // 000000003EB4: E0511000 8001002D
	v_mfma_f32_16x16x32_fp8_fp8 v[76:79], a[6:7], a[126:127], v[76:79]// 000000003EBC: D3F3004C 1D32FD06
	ds_read_b128 a[76:79], v50 offset:14016                    // 000000003EC4: DBFE36C0 4C000032
	v_mul_f32_e32 v4, v184, v151                               // 000000003ECC: 0A092FB8
	v_mov_b32_e32 v5, v4                                       // 000000003ED0: 7E0A0304
	v_mfma_f32_16x16x32_fp8_fp8 v[80:83], a[8:9], a[120:121], 0// 000000003ED4: D3F30050 1A02F108
	v_mfma_f32_16x16x32_fp8_fp8 v[80:83], a[10:11], a[122:123], v[80:83]// 000000003EDC: D3F30050 1D42F50A
	buffer_load_dword v151, v190, s[20:23], 0 offen            // 000000003EE4: E0501000 800597BE
	v_mfma_f32_16x16x32_fp8_fp8 v[80:83], a[12:13], a[124:125], v[80:83]// 000000003EEC: D3F30050 1D42F90C
	v_mfma_f32_16x16x32_fp8_fp8 v[80:83], a[14:15], a[126:127], v[80:83]// 000000003EF4: D3F30050 1D42FD0E
	v_pk_fma_f32 v[124:125], v[4:5], v[76:77], v[124:125]      // 000000003EFC: D3B0407C 1DF29904
	v_pk_fma_f32 v[126:127], v[4:5], v[78:79], v[126:127]      // 000000003F04: D3B0407E 1DFA9D04
	v_pk_fma_f32 v[128:129], v[4:5], v[80:81], v[128:129]      // 000000003F0C: D3B04080 1E02A104
	v_pk_fma_f32 v[130:131], v[4:5], v[82:83], v[130:131]      // 000000003F14: D3B04082 1E0AA504
	v_mfma_f32_16x16x32_fp8_fp8 v[84:87], a[0:1], a[128:129], 0// 000000003F1C: D3F30054 1A030100
	s_add_u32 m0, 0x800, s58                                   // 000000003F24: 807C3AFF 00000800
	buffer_load_dword v46, s[4:7], 0 offen lds                 // 000000003F2C: E0511000 8001002E
	v_mfma_f32_16x16x32_fp8_fp8 v[84:87], a[2:3], a[130:131], v[84:87]// 000000003F34: D3F30054 1D530502
	ds_read_b128 a[80:83], v50 offset:14464                    // 000000003F3C: DBFE3880 50000032
	v_mfma_f32_16x16x32_fp8_fp8 v[84:87], a[4:5], a[132:133], v[84:87]// 000000003F44: D3F30054 1D530904
	s_add_u32 m0, 0x900, s58                                   // 000000003F4C: 807C3AFF 00000900
	buffer_load_dword v47, s[4:7], 0 offen lds                 // 000000003F54: E0511000 8001002F
	v_mfma_f32_16x16x32_fp8_fp8 v[84:87], a[6:7], a[134:135], v[84:87]// 000000003F5C: D3F30054 1D530D06
	ds_read_b128 a[84:87], v50 offset:14528                    // 000000003F64: DBFE38C0 54000032
	v_mul_f32_e32 v4, v184, v152                               // 000000003F6C: 0A0931B8
	v_mov_b32_e32 v5, v4                                       // 000000003F70: 7E0A0304
	v_mfma_f32_16x16x32_fp8_fp8 v[88:91], a[8:9], a[128:129], 0// 000000003F74: D3F30058 1A030108
	v_mfma_f32_16x16x32_fp8_fp8 v[88:91], a[10:11], a[130:131], v[88:91]// 000000003F7C: D3F30058 1D63050A
	buffer_load_dword v152, v191, s[20:23], 0 offen            // 000000003F84: E0501000 800598BF
	v_mfma_f32_16x16x32_fp8_fp8 v[88:91], a[12:13], a[132:133], v[88:91]// 000000003F8C: D3F30058 1D63090C
	v_mfma_f32_16x16x32_fp8_fp8 v[88:91], a[14:15], a[134:135], v[88:91]// 000000003F94: D3F30058 1D630D0E
	v_pk_fma_f32 v[132:133], v[4:5], v[84:85], v[132:133]      // 000000003F9C: D3B04084 1E12A904
	v_pk_fma_f32 v[134:135], v[4:5], v[86:87], v[134:135]      // 000000003FA4: D3B04086 1E1AAD04
	v_pk_fma_f32 v[136:137], v[4:5], v[88:89], v[136:137]      // 000000003FAC: D3B04088 1E22B104
	v_pk_fma_f32 v[138:139], v[4:5], v[90:91], v[138:139]      // 000000003FB4: D3B0408A 1E2AB504
	v_mfma_f32_16x16x32_fp8_fp8 v[92:95], a[0:1], a[136:137], 0// 000000003FBC: D3F3005C 1A031100
	s_add_u32 m0, 0xa00, s58                                   // 000000003FC4: 807C3AFF 00000A00
	buffer_load_dword v48, s[4:7], 0 offen lds                 // 000000003FCC: E0511000 80010030
	v_mfma_f32_16x16x32_fp8_fp8 v[92:95], a[2:3], a[138:139], v[92:95]// 000000003FD4: D3F3005C 1D731502
	ds_read_b128 a[88:91], v50 offset:14976                    // 000000003FDC: DBFE3A80 58000032
	v_mfma_f32_16x16x32_fp8_fp8 v[92:95], a[4:5], a[140:141], v[92:95]// 000000003FE4: D3F3005C 1D731904
	s_add_u32 m0, 0xb00, s58                                   // 000000003FEC: 807C3AFF 00000B00
	buffer_load_dword v49, s[4:7], 0 offen lds                 // 000000003FF4: E0511000 80010031
	v_mfma_f32_16x16x32_fp8_fp8 v[92:95], a[6:7], a[142:143], v[92:95]// 000000003FFC: D3F3005C 1D731D06
	ds_read_b128 a[92:95], v50 offset:15040                    // 000000004004: DBFE3AC0 5C000032
	v_mul_f32_e32 v4, v184, v153                               // 00000000400C: 0A0933B8
	v_mov_b32_e32 v5, v4                                       // 000000004010: 7E0A0304
	v_mfma_f32_16x16x32_fp8_fp8 v[96:99], a[8:9], a[136:137], 0// 000000004014: D3F30060 1A031108
	v_mfma_f32_16x16x32_fp8_fp8 v[96:99], a[10:11], a[138:139], v[96:99]// 00000000401C: D3F30060 1D83150A
	buffer_load_dword v153, v192, s[20:23], 0 offen            // 000000004024: E0501000 800599C0
	s_add_u32 s50, 0x200, s42                                  // 00000000402C: 80322AFF 00000200
	s_cmp_lt_u32 s50, s43                                      // 000000004034: BF0A2B32
	s_cselect_b32 s54, s54, 0                                  // 000000004038: 85368036
	s_add_u32 s50, 0x180, s42                                  // 00000000403C: 80322AFF 00000180
	s_cmp_lt_u32 s50, s43                                      // 000000004044: BF0A2B32
	s_cselect_b32 s55, s55, 0                                  // 000000004048: 85378037
	s_add_u32 s50, 0x200, s42                                  // 00000000404C: 80322AFF 00000200
	s_cmp_lt_u32 s50, s43                                      // 000000004054: BF0A2B32
	s_cselect_b32 s56, s56, 0                                  // 000000004058: 85388038
	s_add_u32 s50, 0x180, s42                                  // 00000000405C: 80322AFF 00000180
	s_cmp_lt_u32 s50, s43                                      // 000000004064: BF0A2B32
	s_cselect_b32 s57, s57, 0                                  // 000000004068: 85398039
	v_mfma_f32_16x16x32_fp8_fp8 v[96:99], a[12:13], a[140:141], v[96:99]// 00000000406C: D3F30060 1D83190C
	v_mfma_f32_16x16x32_fp8_fp8 v[96:99], a[14:15], a[142:143], v[96:99]// 000000004074: D3F30060 1D831D0E
	buffer_load_dword v186, v199, s[24:27], 0 offen            // 00000000407C: E0501000 8006BAC7
	s_add_u32 s4, s54, s4                                      // 000000004084: 80040436
	s_addc_u32 s5, 0, s5                                       // 000000004088: 82050580
	s_sub_u32 s6, s6, s54                                      // 00000000408C: 80863606
	s_add_u32 s8, s55, s8                                      // 000000004090: 80080837
	s_addc_u32 s9, 0, s9                                       // 000000004094: 82090980
	s_sub_u32 s10, s10, s55                                    // 000000004098: 808A370A
	s_add_u32 s20, s56, s20                                    // 00000000409C: 80141438
	s_addc_u32 s21, 0, s21                                     // 0000000040A0: 82151580
	s_add_u32 s24, s57, s24                                    // 0000000040A4: 80181839
	s_addc_u32 s25, 0, s25                                     // 0000000040A8: 82191980
	s_sub_u32 s26, s26, s57                                    // 0000000040AC: 809A391A
	v_pk_fma_f32 v[140:141], v[4:5], v[92:93], v[140:141]      // 0000000040B0: D3B0408C 1E32B904
	v_pk_fma_f32 v[142:143], v[4:5], v[94:95], v[142:143]      // 0000000040B8: D3B0408E 1E3ABD04
	v_pk_fma_f32 v[144:145], v[4:5], v[96:97], v[144:145]      // 0000000040C0: D3B04090 1E42C104
	v_pk_fma_f32 v[146:147], v[4:5], v[98:99], v[146:147]      // 0000000040C8: D3B04092 1E4AC504
	s_addk_i32 s42, 0x80                                       // 0000000040D0: B72A0080
	s_cmp_lt_i32 s42, s43                                      // 0000000040D4: BF042B2A
	s_cbranch_scc0 label_09AA                                  // 0000000040D8: BF840233
	s_waitcnt vmcnt(22) lgkmcnt(0)                             // 0000000040DC: BF8C4076
	s_barrier                                                  // 0000000040E0: BF8A0000
	v_mfma_f32_16x16x32_fp8_fp8 v[52:55], a[16:17], a[48:49], 0// 0000000040E4: D3F30034 1A026110
	s_add_u32 m0, 0, s59                                       // 0000000040EC: 807C3B80
	buffer_load_dword v38, s[4:7], 0 offen lds                 // 0000000040F0: E0511000 80010026
	v_mfma_f32_16x16x32_fp8_fp8 v[52:55], a[18:19], a[50:51], v[52:55]// 0000000040F8: D3F30034 1CD26512
	ds_read_b128 a[96:99], v50 offset:24832                    // 000000004100: DBFE6100 60000032
	v_mfma_f32_16x16x32_fp8_fp8 v[52:55], a[20:21], a[52:53], v[52:55]// 000000004108: D3F30034 1CD26914
	s_add_u32 m0, 0x100, s59                                   // 000000004110: 807C3BFF 00000100
	buffer_load_dword v39, s[4:7], 0 offen lds                 // 000000004118: E0511000 80010027
	v_mfma_f32_16x16x32_fp8_fp8 v[52:55], a[22:23], a[54:55], v[52:55]// 000000004120: D3F30034 1CD26D16
	ds_read_b128 a[100:103], v50 offset:24896                  // 000000004128: DBFE6140 64000032
	v_mul_f32_e32 v4, v185, v154                               // 000000004130: 0A0935B9
	v_mov_b32_e32 v5, v4                                       // 000000004134: 7E0A0304
	v_mfma_f32_16x16x32_fp8_fp8 v[56:59], a[24:25], a[48:49], 0// 000000004138: D3F30038 1A026118
	buffer_load_dwordx4 a[0:3], v34, s[8:11], 0 offen          // 000000004140: E05C1000 80820022
	v_mfma_f32_16x16x32_fp8_fp8 v[56:59], a[26:27], a[50:51], v[56:59]// 000000004148: D3F30038 1CE2651A
	buffer_load_dword v154, v187, s[20:23], 0 offen            // 000000004150: E0501000 80059ABB
	v_mfma_f32_16x16x32_fp8_fp8 v[56:59], a[28:29], a[52:53], v[56:59]// 000000004158: D3F30038 1CE2691C
	buffer_load_dwordx4 a[4:7], v35, s[8:11], 0 offen          // 000000004160: E05C1000 80820423
	v_mfma_f32_16x16x32_fp8_fp8 v[56:59], a[30:31], a[54:55], v[56:59]// 000000004168: D3F30038 1CE26D1E
	v_pk_fma_f32 v[100:101], v[4:5], v[52:53], v[100:101]      // 000000004170: D3B04064 1D926904
	v_pk_fma_f32 v[102:103], v[4:5], v[54:55], v[102:103]      // 000000004178: D3B04066 1D9A6D04
	v_pk_fma_f32 v[104:105], v[4:5], v[56:57], v[104:105]      // 000000004180: D3B04068 1DA27104
	v_pk_fma_f32 v[106:107], v[4:5], v[58:59], v[106:107]      // 000000004188: D3B0406A 1DAA7504
	v_mfma_f32_16x16x32_fp8_fp8 v[60:63], a[16:17], a[56:57], 0// 000000004190: D3F3003C 1A027110
	s_add_u32 m0, 0x200, s59                                   // 000000004198: 807C3BFF 00000200
	buffer_load_dword v40, s[4:7], 0 offen lds                 // 0000000041A0: E0511000 80010028
	v_mfma_f32_16x16x32_fp8_fp8 v[60:63], a[18:19], a[58:59], v[60:63]// 0000000041A8: D3F3003C 1CF27512
	ds_read_b128 a[104:107], v50 offset:25344                  // 0000000041B0: DBFE6300 68000032
	v_mfma_f32_16x16x32_fp8_fp8 v[60:63], a[20:21], a[60:61], v[60:63]// 0000000041B8: D3F3003C 1CF27914
	s_add_u32 m0, 0x300, s59                                   // 0000000041C0: 807C3BFF 00000300
	buffer_load_dword v41, s[4:7], 0 offen lds                 // 0000000041C8: E0511000 80010029
	v_mfma_f32_16x16x32_fp8_fp8 v[60:63], a[22:23], a[62:63], v[60:63]// 0000000041D0: D3F3003C 1CF27D16
	ds_read_b128 a[108:111], v50 offset:25408                  // 0000000041D8: DBFE6340 6C000032
	v_mul_f32_e32 v4, v185, v155                               // 0000000041E0: 0A0937B9
	v_mov_b32_e32 v5, v4                                       // 0000000041E4: 7E0A0304
	v_mfma_f32_16x16x32_fp8_fp8 v[64:67], a[24:25], a[56:57], 0// 0000000041E8: D3F30040 1A027118
	buffer_load_dwordx4 a[8:11], v36, s[8:11], 0 offen         // 0000000041F0: E05C1000 80820824
	v_mfma_f32_16x16x32_fp8_fp8 v[64:67], a[26:27], a[58:59], v[64:67]// 0000000041F8: D3F30040 1D02751A
	buffer_load_dword v155, v188, s[20:23], 0 offen            // 000000004200: E0501000 80059BBC
	v_mfma_f32_16x16x32_fp8_fp8 v[64:67], a[28:29], a[60:61], v[64:67]// 000000004208: D3F30040 1D02791C
	buffer_load_dwordx4 a[12:15], v37, s[8:11], 0 offen        // 000000004210: E05C1000 80820C25
	v_mfma_f32_16x16x32_fp8_fp8 v[64:67], a[30:31], a[62:63], v[64:67]// 000000004218: D3F30040 1D027D1E
	v_pk_fma_f32 v[108:109], v[4:5], v[60:61], v[108:109]      // 000000004220: D3B0406C 1DB27904
	v_pk_fma_f32 v[110:111], v[4:5], v[62:63], v[110:111]      // 000000004228: D3B0406E 1DBA7D04
	v_pk_fma_f32 v[112:113], v[4:5], v[64:65], v[112:113]      // 000000004230: D3B04070 1DC28104
	v_pk_fma_f32 v[114:115], v[4:5], v[66:67], v[114:115]      // 000000004238: D3B04072 1DCA8504
	v_mfma_f32_16x16x32_fp8_fp8 v[68:71], a[16:17], a[64:65], 0// 000000004240: D3F30044 1A028110
	s_add_u32 m0, 0x400, s59                                   // 000000004248: 807C3BFF 00000400
	buffer_load_dword v42, s[4:7], 0 offen lds                 // 000000004250: E0511000 8001002A
	v_mfma_f32_16x16x32_fp8_fp8 v[68:71], a[18:19], a[66:67], v[68:71]// 000000004258: D3F30044 1D128512
	ds_read_b128 a[112:115], v50 offset:25856                  // 000000004260: DBFE6500 70000032
	v_mfma_f32_16x16x32_fp8_fp8 v[68:71], a[20:21], a[68:69], v[68:71]// 000000004268: D3F30044 1D128914
	s_add_u32 m0, 0x500, s59                                   // 000000004270: 807C3BFF 00000500
	buffer_load_dword v43, s[4:7], 0 offen lds                 // 000000004278: E0511000 8001002B
	v_mfma_f32_16x16x32_fp8_fp8 v[68:71], a[22:23], a[70:71], v[68:71]// 000000004280: D3F30044 1D128D16
	ds_read_b128 a[116:119], v50 offset:25920                  // 000000004288: DBFE6540 74000032
	v_mul_f32_e32 v4, v185, v156                               // 000000004290: 0A0939B9
	v_mov_b32_e32 v5, v4                                       // 000000004294: 7E0A0304
	v_mfma_f32_16x16x32_fp8_fp8 v[72:75], a[24:25], a[64:65], 0// 000000004298: D3F30048 1A028118
	v_mfma_f32_16x16x32_fp8_fp8 v[72:75], a[26:27], a[66:67], v[72:75]// 0000000042A0: D3F30048 1D22851A
	buffer_load_dword v156, v189, s[20:23], 0 offen            // 0000000042A8: E0501000 80059CBD
	v_mfma_f32_16x16x32_fp8_fp8 v[72:75], a[28:29], a[68:69], v[72:75]// 0000000042B0: D3F30048 1D22891C
	v_mfma_f32_16x16x32_fp8_fp8 v[72:75], a[30:31], a[70:71], v[72:75]// 0000000042B8: D3F30048 1D228D1E
	v_pk_fma_f32 v[116:117], v[4:5], v[68:69], v[116:117]      // 0000000042C0: D3B04074 1DD28904
	v_pk_fma_f32 v[118:119], v[4:5], v[70:71], v[118:119]      // 0000000042C8: D3B04076 1DDA8D04
	v_pk_fma_f32 v[120:121], v[4:5], v[72:73], v[120:121]      // 0000000042D0: D3B04078 1DE29104
	v_pk_fma_f32 v[122:123], v[4:5], v[74:75], v[122:123]      // 0000000042D8: D3B0407A 1DEA9504
	v_mfma_f32_16x16x32_fp8_fp8 v[76:79], a[16:17], a[72:73], 0// 0000000042E0: D3F3004C 1A029110
	s_add_u32 m0, 0x600, s59                                   // 0000000042E8: 807C3BFF 00000600
	buffer_load_dword v44, s[4:7], 0 offen lds                 // 0000000042F0: E0511000 8001002C
	v_mfma_f32_16x16x32_fp8_fp8 v[76:79], a[18:19], a[74:75], v[76:79]// 0000000042F8: D3F3004C 1D329512
	ds_read_b128 a[120:123], v50 offset:26368                  // 000000004300: DBFE6700 78000032
	v_mfma_f32_16x16x32_fp8_fp8 v[76:79], a[20:21], a[76:77], v[76:79]// 000000004308: D3F3004C 1D329914
	s_add_u32 m0, 0x700, s59                                   // 000000004310: 807C3BFF 00000700
	buffer_load_dword v45, s[4:7], 0 offen lds                 // 000000004318: E0511000 8001002D
	v_mfma_f32_16x16x32_fp8_fp8 v[76:79], a[22:23], a[78:79], v[76:79]// 000000004320: D3F3004C 1D329D16
	ds_read_b128 a[124:127], v50 offset:26432                  // 000000004328: DBFE6740 7C000032
	v_mul_f32_e32 v4, v185, v157                               // 000000004330: 0A093BB9
	v_mov_b32_e32 v5, v4                                       // 000000004334: 7E0A0304
	v_mfma_f32_16x16x32_fp8_fp8 v[80:83], a[24:25], a[72:73], 0// 000000004338: D3F30050 1A029118
	v_mfma_f32_16x16x32_fp8_fp8 v[80:83], a[26:27], a[74:75], v[80:83]// 000000004340: D3F30050 1D42951A
	buffer_load_dword v157, v190, s[20:23], 0 offen            // 000000004348: E0501000 80059DBE
	v_mfma_f32_16x16x32_fp8_fp8 v[80:83], a[28:29], a[76:77], v[80:83]// 000000004350: D3F30050 1D42991C
	v_mfma_f32_16x16x32_fp8_fp8 v[80:83], a[30:31], a[78:79], v[80:83]// 000000004358: D3F30050 1D429D1E
	v_pk_fma_f32 v[124:125], v[4:5], v[76:77], v[124:125]      // 000000004360: D3B0407C 1DF29904
	v_pk_fma_f32 v[126:127], v[4:5], v[78:79], v[126:127]      // 000000004368: D3B0407E 1DFA9D04
	v_pk_fma_f32 v[128:129], v[4:5], v[80:81], v[128:129]      // 000000004370: D3B04080 1E02A104
	v_pk_fma_f32 v[130:131], v[4:5], v[82:83], v[130:131]      // 000000004378: D3B04082 1E0AA504
	v_mfma_f32_16x16x32_fp8_fp8 v[84:87], a[16:17], a[80:81], 0// 000000004380: D3F30054 1A02A110
	s_add_u32 m0, 0x800, s59                                   // 000000004388: 807C3BFF 00000800
	buffer_load_dword v46, s[4:7], 0 offen lds                 // 000000004390: E0511000 8001002E
	v_mfma_f32_16x16x32_fp8_fp8 v[84:87], a[18:19], a[82:83], v[84:87]// 000000004398: D3F30054 1D52A512
	ds_read_b128 a[128:131], v50 offset:26880                  // 0000000043A0: DBFE6900 80000032
	v_mfma_f32_16x16x32_fp8_fp8 v[84:87], a[20:21], a[84:85], v[84:87]// 0000000043A8: D3F30054 1D52A914
	s_add_u32 m0, 0x900, s59                                   // 0000000043B0: 807C3BFF 00000900
	buffer_load_dword v47, s[4:7], 0 offen lds                 // 0000000043B8: E0511000 8001002F
	v_mfma_f32_16x16x32_fp8_fp8 v[84:87], a[22:23], a[86:87], v[84:87]// 0000000043C0: D3F30054 1D52AD16
	ds_read_b128 a[132:135], v50 offset:26944                  // 0000000043C8: DBFE6940 84000032
	v_mul_f32_e32 v4, v185, v158                               // 0000000043D0: 0A093DB9
	v_mov_b32_e32 v5, v4                                       // 0000000043D4: 7E0A0304
	v_mfma_f32_16x16x32_fp8_fp8 v[88:91], a[24:25], a[80:81], 0// 0000000043D8: D3F30058 1A02A118
	v_mfma_f32_16x16x32_fp8_fp8 v[88:91], a[26:27], a[82:83], v[88:91]// 0000000043E0: D3F30058 1D62A51A
	buffer_load_dword v158, v191, s[20:23], 0 offen            // 0000000043E8: E0501000 80059EBF
	v_mfma_f32_16x16x32_fp8_fp8 v[88:91], a[28:29], a[84:85], v[88:91]// 0000000043F0: D3F30058 1D62A91C
	v_mfma_f32_16x16x32_fp8_fp8 v[88:91], a[30:31], a[86:87], v[88:91]// 0000000043F8: D3F30058 1D62AD1E
	v_pk_fma_f32 v[132:133], v[4:5], v[84:85], v[132:133]      // 000000004400: D3B04084 1E12A904
	v_pk_fma_f32 v[134:135], v[4:5], v[86:87], v[134:135]      // 000000004408: D3B04086 1E1AAD04
	v_pk_fma_f32 v[136:137], v[4:5], v[88:89], v[136:137]      // 000000004410: D3B04088 1E22B104
	v_pk_fma_f32 v[138:139], v[4:5], v[90:91], v[138:139]      // 000000004418: D3B0408A 1E2AB504
	v_mfma_f32_16x16x32_fp8_fp8 v[92:95], a[16:17], a[88:89], 0// 000000004420: D3F3005C 1A02B110
	s_add_u32 m0, 0xa00, s59                                   // 000000004428: 807C3BFF 00000A00
	buffer_load_dword v48, s[4:7], 0 offen lds                 // 000000004430: E0511000 80010030
	v_mfma_f32_16x16x32_fp8_fp8 v[92:95], a[18:19], a[90:91], v[92:95]// 000000004438: D3F3005C 1D72B512
	ds_read_b128 a[136:139], v50 offset:27392                  // 000000004440: DBFE6B00 88000032
	v_mfma_f32_16x16x32_fp8_fp8 v[92:95], a[20:21], a[92:93], v[92:95]// 000000004448: D3F3005C 1D72B914
	s_add_u32 m0, 0xb00, s59                                   // 000000004450: 807C3BFF 00000B00
	buffer_load_dword v49, s[4:7], 0 offen lds                 // 000000004458: E0511000 80010031
	v_mfma_f32_16x16x32_fp8_fp8 v[92:95], a[22:23], a[94:95], v[92:95]// 000000004460: D3F3005C 1D72BD16
	ds_read_b128 a[140:143], v50 offset:27456                  // 000000004468: DBFE6B40 8C000032
	v_mul_f32_e32 v4, v185, v159                               // 000000004470: 0A093FB9
	v_mov_b32_e32 v5, v4                                       // 000000004474: 7E0A0304
	v_mfma_f32_16x16x32_fp8_fp8 v[96:99], a[24:25], a[88:89], 0// 000000004478: D3F30060 1A02B118
	v_mfma_f32_16x16x32_fp8_fp8 v[96:99], a[26:27], a[90:91], v[96:99]// 000000004480: D3F30060 1D82B51A
	buffer_load_dword v159, v192, s[20:23], 0 offen            // 000000004488: E0501000 80059FC0
	s_add_u32 s50, 0x200, s42                                  // 000000004490: 80322AFF 00000200
	s_cmp_lt_u32 s50, s43                                      // 000000004498: BF0A2B32
	s_cselect_b32 s54, s54, 0                                  // 00000000449C: 85368036
	s_add_u32 s50, 0x180, s42                                  // 0000000044A0: 80322AFF 00000180
	s_cmp_lt_u32 s50, s43                                      // 0000000044A8: BF0A2B32
	s_cselect_b32 s55, s55, 0                                  // 0000000044AC: 85378037
	s_add_u32 s50, 0x200, s42                                  // 0000000044B0: 80322AFF 00000200
	s_cmp_lt_u32 s50, s43                                      // 0000000044B8: BF0A2B32
	s_cselect_b32 s56, s56, 0                                  // 0000000044BC: 85388038
	s_add_u32 s50, 0x180, s42                                  // 0000000044C0: 80322AFF 00000180
	s_cmp_lt_u32 s50, s43                                      // 0000000044C8: BF0A2B32
	s_cselect_b32 s57, s57, 0                                  // 0000000044CC: 85398039
	v_mfma_f32_16x16x32_fp8_fp8 v[96:99], a[28:29], a[92:93], v[96:99]// 0000000044D0: D3F30060 1D82B91C
	v_mfma_f32_16x16x32_fp8_fp8 v[96:99], a[30:31], a[94:95], v[96:99]// 0000000044D8: D3F30060 1D82BD1E
	buffer_load_dword v184, v199, s[24:27], 0 offen            // 0000000044E0: E0501000 8006B8C7
	s_add_u32 s4, s54, s4                                      // 0000000044E8: 80040436
	s_addc_u32 s5, 0, s5                                       // 0000000044EC: 82050580
	s_sub_u32 s6, s6, s54                                      // 0000000044F0: 80863606
	s_add_u32 s8, s55, s8                                      // 0000000044F4: 80080837
	s_addc_u32 s9, 0, s9                                       // 0000000044F8: 82090980
	s_sub_u32 s10, s10, s55                                    // 0000000044FC: 808A370A
	s_add_u32 s20, s56, s20                                    // 000000004500: 80141438
	s_addc_u32 s21, 0, s21                                     // 000000004504: 82151580
	s_add_u32 s24, s57, s24                                    // 000000004508: 80181839
	s_addc_u32 s25, 0, s25                                     // 00000000450C: 82191980
	s_sub_u32 s26, s26, s57                                    // 000000004510: 809A391A
	v_pk_fma_f32 v[140:141], v[4:5], v[92:93], v[140:141]      // 000000004514: D3B0408C 1E32B904
	v_pk_fma_f32 v[142:143], v[4:5], v[94:95], v[142:143]      // 00000000451C: D3B0408E 1E3ABD04
	v_pk_fma_f32 v[144:145], v[4:5], v[96:97], v[144:145]      // 000000004524: D3B04090 1E42C104
	v_pk_fma_f32 v[146:147], v[4:5], v[98:99], v[146:147]      // 00000000452C: D3B04092 1E4AC504
	s_addk_i32 s42, 0x80                                       // 000000004534: B72A0080
	s_cmp_lt_i32 s42, s43                                      // 000000004538: BF042B2A
	s_cbranch_scc0 label_09AA                                  // 00000000453C: BF84011A
	s_waitcnt vmcnt(22) lgkmcnt(0)                             // 000000004540: BF8C4076
	s_barrier                                                  // 000000004544: BF8A0000
	v_mfma_f32_16x16x32_fp8_fp8 v[52:55], a[32:33], a[96:97], 0// 000000004548: D3F30034 1A02C120
	s_add_u32 m0, 0, s60                                       // 000000004550: 807C3C80
	buffer_load_dword v38, s[4:7], 0 offen lds                 // 000000004554: E0511000 80010026
	v_mfma_f32_16x16x32_fp8_fp8 v[52:55], a[34:35], a[98:99], v[52:55]// 00000000455C: D3F30034 1CD2C522
	ds_read_b128 a[48:51], v50                                 // 000000004564: DBFE0000 30000032
	v_mfma_f32_16x16x32_fp8_fp8 v[52:55], a[36:37], a[100:101], v[52:55]// 00000000456C: D3F30034 1CD2C924
	s_add_u32 m0, 0x100, s60                                   // 000000004574: 807C3CFF 00000100
	buffer_load_dword v39, s[4:7], 0 offen lds                 // 00000000457C: E0511000 80010027
	v_mfma_f32_16x16x32_fp8_fp8 v[52:55], a[38:39], a[102:103], v[52:55]// 000000004584: D3F30034 1CD2CD26
	ds_read_b128 a[52:55], v50 offset:64                       // 00000000458C: DBFE0040 34000032
	v_mul_f32_e32 v4, v186, v160                               // 000000004594: 0A0941BA
	v_mov_b32_e32 v5, v4                                       // 000000004598: 7E0A0304
	v_mfma_f32_16x16x32_fp8_fp8 v[56:59], a[40:41], a[96:97], 0// 00000000459C: D3F30038 1A02C128
	buffer_load_dwordx4 a[16:19], v34, s[8:11], 0 offen        // 0000000045A4: E05C1000 80821022
	v_mfma_f32_16x16x32_fp8_fp8 v[56:59], a[42:43], a[98:99], v[56:59]// 0000000045AC: D3F30038 1CE2C52A
	buffer_load_dword v160, v187, s[20:23], 0 offen            // 0000000045B4: E0501000 8005A0BB
	v_mfma_f32_16x16x32_fp8_fp8 v[56:59], a[44:45], a[100:101], v[56:59]// 0000000045BC: D3F30038 1CE2C92C
	buffer_load_dwordx4 a[20:23], v35, s[8:11], 0 offen        // 0000000045C4: E05C1000 80821423
	v_mfma_f32_16x16x32_fp8_fp8 v[56:59], a[46:47], a[102:103], v[56:59]// 0000000045CC: D3F30038 1CE2CD2E
	v_pk_fma_f32 v[100:101], v[4:5], v[52:53], v[100:101]      // 0000000045D4: D3B04064 1D926904
	v_pk_fma_f32 v[102:103], v[4:5], v[54:55], v[102:103]      // 0000000045DC: D3B04066 1D9A6D04
	v_pk_fma_f32 v[104:105], v[4:5], v[56:57], v[104:105]      // 0000000045E4: D3B04068 1DA27104
	v_pk_fma_f32 v[106:107], v[4:5], v[58:59], v[106:107]      // 0000000045EC: D3B0406A 1DAA7504
	v_mfma_f32_16x16x32_fp8_fp8 v[60:63], a[32:33], a[104:105], 0// 0000000045F4: D3F3003C 1A02D120
	s_add_u32 m0, 0x200, s60                                   // 0000000045FC: 807C3CFF 00000200
	buffer_load_dword v40, s[4:7], 0 offen lds                 // 000000004604: E0511000 80010028
	v_mfma_f32_16x16x32_fp8_fp8 v[60:63], a[34:35], a[106:107], v[60:63]// 00000000460C: D3F3003C 1CF2D522
	ds_read_b128 a[56:59], v50 offset:512                      // 000000004614: DBFE0200 38000032
	v_mfma_f32_16x16x32_fp8_fp8 v[60:63], a[36:37], a[108:109], v[60:63]// 00000000461C: D3F3003C 1CF2D924
	s_add_u32 m0, 0x300, s60                                   // 000000004624: 807C3CFF 00000300
	buffer_load_dword v41, s[4:7], 0 offen lds                 // 00000000462C: E0511000 80010029
	v_mfma_f32_16x16x32_fp8_fp8 v[60:63], a[38:39], a[110:111], v[60:63]// 000000004634: D3F3003C 1CF2DD26
	ds_read_b128 a[60:63], v50 offset:576                      // 00000000463C: DBFE0240 3C000032
	v_mul_f32_e32 v4, v186, v161                               // 000000004644: 0A0943BA
	v_mov_b32_e32 v5, v4                                       // 000000004648: 7E0A0304
	v_mfma_f32_16x16x32_fp8_fp8 v[64:67], a[40:41], a[104:105], 0// 00000000464C: D3F30040 1A02D128
	buffer_load_dwordx4 a[24:27], v36, s[8:11], 0 offen        // 000000004654: E05C1000 80821824
	v_mfma_f32_16x16x32_fp8_fp8 v[64:67], a[42:43], a[106:107], v[64:67]// 00000000465C: D3F30040 1D02D52A
	buffer_load_dword v161, v188, s[20:23], 0 offen            // 000000004664: E0501000 8005A1BC
	v_mfma_f32_16x16x32_fp8_fp8 v[64:67], a[44:45], a[108:109], v[64:67]// 00000000466C: D3F30040 1D02D92C
	buffer_load_dwordx4 a[28:31], v37, s[8:11], 0 offen        // 000000004674: E05C1000 80821C25
	v_mfma_f32_16x16x32_fp8_fp8 v[64:67], a[46:47], a[110:111], v[64:67]// 00000000467C: D3F30040 1D02DD2E
	v_pk_fma_f32 v[108:109], v[4:5], v[60:61], v[108:109]      // 000000004684: D3B0406C 1DB27904
	v_pk_fma_f32 v[110:111], v[4:5], v[62:63], v[110:111]      // 00000000468C: D3B0406E 1DBA7D04
	v_pk_fma_f32 v[112:113], v[4:5], v[64:65], v[112:113]      // 000000004694: D3B04070 1DC28104
	v_pk_fma_f32 v[114:115], v[4:5], v[66:67], v[114:115]      // 00000000469C: D3B04072 1DCA8504
	v_mfma_f32_16x16x32_fp8_fp8 v[68:71], a[32:33], a[112:113], 0// 0000000046A4: D3F30044 1A02E120
	s_add_u32 m0, 0x400, s60                                   // 0000000046AC: 807C3CFF 00000400
	buffer_load_dword v42, s[4:7], 0 offen lds                 // 0000000046B4: E0511000 8001002A
	v_mfma_f32_16x16x32_fp8_fp8 v[68:71], a[34:35], a[114:115], v[68:71]// 0000000046BC: D3F30044 1D12E522
	ds_read_b128 a[64:67], v50 offset:1024                     // 0000000046C4: DBFE0400 40000032
	v_mfma_f32_16x16x32_fp8_fp8 v[68:71], a[36:37], a[116:117], v[68:71]// 0000000046CC: D3F30044 1D12E924
	s_add_u32 m0, 0x500, s60                                   // 0000000046D4: 807C3CFF 00000500
	buffer_load_dword v43, s[4:7], 0 offen lds                 // 0000000046DC: E0511000 8001002B
	v_mfma_f32_16x16x32_fp8_fp8 v[68:71], a[38:39], a[118:119], v[68:71]// 0000000046E4: D3F30044 1D12ED26
	ds_read_b128 a[68:71], v50 offset:1088                     // 0000000046EC: DBFE0440 44000032
	v_mul_f32_e32 v4, v186, v162                               // 0000000046F4: 0A0945BA
	v_mov_b32_e32 v5, v4                                       // 0000000046F8: 7E0A0304
	v_mfma_f32_16x16x32_fp8_fp8 v[72:75], a[40:41], a[112:113], 0// 0000000046FC: D3F30048 1A02E128
	v_mfma_f32_16x16x32_fp8_fp8 v[72:75], a[42:43], a[114:115], v[72:75]// 000000004704: D3F30048 1D22E52A
	buffer_load_dword v162, v189, s[20:23], 0 offen            // 00000000470C: E0501000 8005A2BD
	v_mfma_f32_16x16x32_fp8_fp8 v[72:75], a[44:45], a[116:117], v[72:75]// 000000004714: D3F30048 1D22E92C
	v_mfma_f32_16x16x32_fp8_fp8 v[72:75], a[46:47], a[118:119], v[72:75]// 00000000471C: D3F30048 1D22ED2E
	v_pk_fma_f32 v[116:117], v[4:5], v[68:69], v[116:117]      // 000000004724: D3B04074 1DD28904
	v_pk_fma_f32 v[118:119], v[4:5], v[70:71], v[118:119]      // 00000000472C: D3B04076 1DDA8D04
	v_pk_fma_f32 v[120:121], v[4:5], v[72:73], v[120:121]      // 000000004734: D3B04078 1DE29104
	v_pk_fma_f32 v[122:123], v[4:5], v[74:75], v[122:123]      // 00000000473C: D3B0407A 1DEA9504
	v_mfma_f32_16x16x32_fp8_fp8 v[76:79], a[32:33], a[120:121], 0// 000000004744: D3F3004C 1A02F120
	s_add_u32 m0, 0x600, s60                                   // 00000000474C: 807C3CFF 00000600
	buffer_load_dword v44, s[4:7], 0 offen lds                 // 000000004754: E0511000 8001002C
	v_mfma_f32_16x16x32_fp8_fp8 v[76:79], a[34:35], a[122:123], v[76:79]// 00000000475C: D3F3004C 1D32F522
	ds_read_b128 a[72:75], v50 offset:1536                     // 000000004764: DBFE0600 48000032
	v_mfma_f32_16x16x32_fp8_fp8 v[76:79], a[36:37], a[124:125], v[76:79]// 00000000476C: D3F3004C 1D32F924
	s_add_u32 m0, 0x700, s60                                   // 000000004774: 807C3CFF 00000700
	buffer_load_dword v45, s[4:7], 0 offen lds                 // 00000000477C: E0511000 8001002D
	v_mfma_f32_16x16x32_fp8_fp8 v[76:79], a[38:39], a[126:127], v[76:79]// 000000004784: D3F3004C 1D32FD26
	ds_read_b128 a[76:79], v50 offset:1600                     // 00000000478C: DBFE0640 4C000032
	v_mul_f32_e32 v4, v186, v163                               // 000000004794: 0A0947BA
	v_mov_b32_e32 v5, v4                                       // 000000004798: 7E0A0304
	v_mfma_f32_16x16x32_fp8_fp8 v[80:83], a[40:41], a[120:121], 0// 00000000479C: D3F30050 1A02F128
	v_mfma_f32_16x16x32_fp8_fp8 v[80:83], a[42:43], a[122:123], v[80:83]// 0000000047A4: D3F30050 1D42F52A
	buffer_load_dword v163, v190, s[20:23], 0 offen            // 0000000047AC: E0501000 8005A3BE
	v_mfma_f32_16x16x32_fp8_fp8 v[80:83], a[44:45], a[124:125], v[80:83]// 0000000047B4: D3F30050 1D42F92C
	v_mfma_f32_16x16x32_fp8_fp8 v[80:83], a[46:47], a[126:127], v[80:83]// 0000000047BC: D3F30050 1D42FD2E
	v_pk_fma_f32 v[124:125], v[4:5], v[76:77], v[124:125]      // 0000000047C4: D3B0407C 1DF29904
	v_pk_fma_f32 v[126:127], v[4:5], v[78:79], v[126:127]      // 0000000047CC: D3B0407E 1DFA9D04
	v_pk_fma_f32 v[128:129], v[4:5], v[80:81], v[128:129]      // 0000000047D4: D3B04080 1E02A104
	v_pk_fma_f32 v[130:131], v[4:5], v[82:83], v[130:131]      // 0000000047DC: D3B04082 1E0AA504
	v_mfma_f32_16x16x32_fp8_fp8 v[84:87], a[32:33], a[128:129], 0// 0000000047E4: D3F30054 1A030120
	s_add_u32 m0, 0x800, s60                                   // 0000000047EC: 807C3CFF 00000800
	buffer_load_dword v46, s[4:7], 0 offen lds                 // 0000000047F4: E0511000 8001002E
	v_mfma_f32_16x16x32_fp8_fp8 v[84:87], a[34:35], a[130:131], v[84:87]// 0000000047FC: D3F30054 1D530522
	ds_read_b128 a[80:83], v50 offset:2048                     // 000000004804: DBFE0800 50000032
	v_mfma_f32_16x16x32_fp8_fp8 v[84:87], a[36:37], a[132:133], v[84:87]// 00000000480C: D3F30054 1D530924
	s_add_u32 m0, 0x900, s60                                   // 000000004814: 807C3CFF 00000900
	buffer_load_dword v47, s[4:7], 0 offen lds                 // 00000000481C: E0511000 8001002F
	v_mfma_f32_16x16x32_fp8_fp8 v[84:87], a[38:39], a[134:135], v[84:87]// 000000004824: D3F30054 1D530D26
	ds_read_b128 a[84:87], v50 offset:2112                     // 00000000482C: DBFE0840 54000032
	v_mul_f32_e32 v4, v186, v164                               // 000000004834: 0A0949BA
	v_mov_b32_e32 v5, v4                                       // 000000004838: 7E0A0304
	v_mfma_f32_16x16x32_fp8_fp8 v[88:91], a[40:41], a[128:129], 0// 00000000483C: D3F30058 1A030128
	v_mfma_f32_16x16x32_fp8_fp8 v[88:91], a[42:43], a[130:131], v[88:91]// 000000004844: D3F30058 1D63052A
	buffer_load_dword v164, v191, s[20:23], 0 offen            // 00000000484C: E0501000 8005A4BF
	v_mfma_f32_16x16x32_fp8_fp8 v[88:91], a[44:45], a[132:133], v[88:91]// 000000004854: D3F30058 1D63092C
	v_mfma_f32_16x16x32_fp8_fp8 v[88:91], a[46:47], a[134:135], v[88:91]// 00000000485C: D3F30058 1D630D2E
	v_pk_fma_f32 v[132:133], v[4:5], v[84:85], v[132:133]      // 000000004864: D3B04084 1E12A904
	v_pk_fma_f32 v[134:135], v[4:5], v[86:87], v[134:135]      // 00000000486C: D3B04086 1E1AAD04
	v_pk_fma_f32 v[136:137], v[4:5], v[88:89], v[136:137]      // 000000004874: D3B04088 1E22B104
	v_pk_fma_f32 v[138:139], v[4:5], v[90:91], v[138:139]      // 00000000487C: D3B0408A 1E2AB504
	v_mfma_f32_16x16x32_fp8_fp8 v[92:95], a[32:33], a[136:137], 0// 000000004884: D3F3005C 1A031120
	s_add_u32 m0, 0xa00, s60                                   // 00000000488C: 807C3CFF 00000A00
	buffer_load_dword v48, s[4:7], 0 offen lds                 // 000000004894: E0511000 80010030
	v_mfma_f32_16x16x32_fp8_fp8 v[92:95], a[34:35], a[138:139], v[92:95]// 00000000489C: D3F3005C 1D731522
	ds_read_b128 a[88:91], v50 offset:2560                     // 0000000048A4: DBFE0A00 58000032
	v_mfma_f32_16x16x32_fp8_fp8 v[92:95], a[36:37], a[140:141], v[92:95]// 0000000048AC: D3F3005C 1D731924
	s_add_u32 m0, 0xb00, s60                                   // 0000000048B4: 807C3CFF 00000B00
	buffer_load_dword v49, s[4:7], 0 offen lds                 // 0000000048BC: E0511000 80010031
	v_mfma_f32_16x16x32_fp8_fp8 v[92:95], a[38:39], a[142:143], v[92:95]// 0000000048C4: D3F3005C 1D731D26
	ds_read_b128 a[92:95], v50 offset:2624                     // 0000000048CC: DBFE0A40 5C000032
	v_mul_f32_e32 v4, v186, v165                               // 0000000048D4: 0A094BBA
	v_mov_b32_e32 v5, v4                                       // 0000000048D8: 7E0A0304
	v_mfma_f32_16x16x32_fp8_fp8 v[96:99], a[40:41], a[136:137], 0// 0000000048DC: D3F30060 1A031128
	v_mfma_f32_16x16x32_fp8_fp8 v[96:99], a[42:43], a[138:139], v[96:99]// 0000000048E4: D3F30060 1D83152A
	buffer_load_dword v165, v192, s[20:23], 0 offen            // 0000000048EC: E0501000 8005A5C0
	s_add_u32 s50, 0x200, s42                                  // 0000000048F4: 80322AFF 00000200
	s_cmp_lt_u32 s50, s43                                      // 0000000048FC: BF0A2B32
	s_cselect_b32 s54, s54, 0                                  // 000000004900: 85368036
	s_add_u32 s50, 0x180, s42                                  // 000000004904: 80322AFF 00000180
	s_cmp_lt_u32 s50, s43                                      // 00000000490C: BF0A2B32
	s_cselect_b32 s55, s55, 0                                  // 000000004910: 85378037
	s_add_u32 s50, 0x200, s42                                  // 000000004914: 80322AFF 00000200
	s_cmp_lt_u32 s50, s43                                      // 00000000491C: BF0A2B32
	s_cselect_b32 s56, s56, 0                                  // 000000004920: 85388038
	s_add_u32 s50, 0x180, s42                                  // 000000004924: 80322AFF 00000180
	s_cmp_lt_u32 s50, s43                                      // 00000000492C: BF0A2B32
	s_cselect_b32 s57, s57, 0                                  // 000000004930: 85398039
	v_mfma_f32_16x16x32_fp8_fp8 v[96:99], a[44:45], a[140:141], v[96:99]// 000000004934: D3F30060 1D83192C
	v_mfma_f32_16x16x32_fp8_fp8 v[96:99], a[46:47], a[142:143], v[96:99]// 00000000493C: D3F30060 1D831D2E
	buffer_load_dword v185, v199, s[24:27], 0 offen            // 000000004944: E0501000 8006B9C7
	s_add_u32 s4, s54, s4                                      // 00000000494C: 80040436
	s_addc_u32 s5, 0, s5                                       // 000000004950: 82050580
	s_sub_u32 s6, s6, s54                                      // 000000004954: 80863606
	s_add_u32 s8, s55, s8                                      // 000000004958: 80080837
	s_addc_u32 s9, 0, s9                                       // 00000000495C: 82090980
	s_sub_u32 s10, s10, s55                                    // 000000004960: 808A370A
	s_add_u32 s20, s56, s20                                    // 000000004964: 80141438
	s_addc_u32 s21, 0, s21                                     // 000000004968: 82151580
	s_add_u32 s24, s57, s24                                    // 00000000496C: 80181839
	s_addc_u32 s25, 0, s25                                     // 000000004970: 82191980
	s_sub_u32 s26, s26, s57                                    // 000000004974: 809A391A
	v_pk_fma_f32 v[140:141], v[4:5], v[92:93], v[140:141]      // 000000004978: D3B0408C 1E32B904
	v_pk_fma_f32 v[142:143], v[4:5], v[94:95], v[142:143]      // 000000004980: D3B0408E 1E3ABD04
	v_pk_fma_f32 v[144:145], v[4:5], v[96:97], v[144:145]      // 000000004988: D3B04090 1E42C104
	v_pk_fma_f32 v[146:147], v[4:5], v[98:99], v[146:147]      // 000000004990: D3B04092 1E4AC504
	s_addk_i32 s42, 0x80                                       // 000000004998: B72A0080
	s_cmp_lt_i32 s42, s43                                      // 00000000499C: BF042B2A
	s_cbranch_scc0 label_09AA                                  // 0000000049A0: BF840001
	s_branch label_0313                                        // 0000000049A4: BF82F969

00000000000049a8 <label_09AA>:
	s_cmp_eq_u32 s38, 1                                        // 0000000049A8: BF068126
	s_cbranch_scc1 label_0B22                                  // 0000000049AC: BF850176
	v_add_f32_e32 v100, v100, v12                              // 0000000049B0: 02C81964
	v_add_f32_e32 v101, v101, v13                              // 0000000049B4: 02CA1B65
	v_perm_b32 v52, v101, v100, s48                            // 0000000049B8: D1ED0034 00C2C965
	v_add_f32_e32 v102, v102, v14                              // 0000000049C0: 02CC1D66
	v_add_f32_e32 v103, v103, v15                              // 0000000049C4: 02CE1F67
	v_perm_b32 v53, v103, v102, s48                            // 0000000049C8: D1ED0035 00C2CD67
	v_add_f32_e32 v104, v104, v16                              // 0000000049D0: 02D02168
	v_add_f32_e32 v105, v105, v17                              // 0000000049D4: 02D22369
	v_perm_b32 v54, v105, v104, s48                            // 0000000049D8: D1ED0036 00C2D169
	v_add_f32_e32 v106, v106, v18                              // 0000000049E0: 02D4256A
	v_add_f32_e32 v107, v107, v19                              // 0000000049E4: 02D6276B
	v_perm_b32 v55, v107, v106, s48                            // 0000000049E8: D1ED0037 00C2D56B
	v_add_f32_e32 v108, v108, v12                              // 0000000049F0: 02D8196C
	v_add_f32_e32 v109, v109, v13                              // 0000000049F4: 02DA1B6D
	v_perm_b32 v56, v109, v108, s48                            // 0000000049F8: D1ED0038 00C2D96D
	v_add_f32_e32 v110, v110, v14                              // 000000004A00: 02DC1D6E
	v_add_f32_e32 v111, v111, v15                              // 000000004A04: 02DE1F6F
	v_perm_b32 v57, v111, v110, s48                            // 000000004A08: D1ED0039 00C2DD6F
	v_add_f32_e32 v112, v112, v16                              // 000000004A10: 02E02170
	v_add_f32_e32 v113, v113, v17                              // 000000004A14: 02E22371
	v_perm_b32 v58, v113, v112, s48                            // 000000004A18: D1ED003A 00C2E171
	v_add_f32_e32 v114, v114, v18                              // 000000004A20: 02E42572
	v_add_f32_e32 v115, v115, v19                              // 000000004A24: 02E62773
	v_perm_b32 v59, v115, v114, s48                            // 000000004A28: D1ED003B 00C2E573
	v_add_f32_e32 v116, v116, v12                              // 000000004A30: 02E81974
	v_add_f32_e32 v117, v117, v13                              // 000000004A34: 02EA1B75
	v_perm_b32 v60, v117, v116, s48                            // 000000004A38: D1ED003C 00C2E975
	v_add_f32_e32 v118, v118, v14                              // 000000004A40: 02EC1D76
	v_add_f32_e32 v119, v119, v15                              // 000000004A44: 02EE1F77
	v_perm_b32 v61, v119, v118, s48                            // 000000004A48: D1ED003D 00C2ED77
	v_add_f32_e32 v120, v120, v16                              // 000000004A50: 02F02178
	v_add_f32_e32 v121, v121, v17                              // 000000004A54: 02F22379
	v_perm_b32 v62, v121, v120, s48                            // 000000004A58: D1ED003E 00C2F179
	v_add_f32_e32 v122, v122, v18                              // 000000004A60: 02F4257A
	v_add_f32_e32 v123, v123, v19                              // 000000004A64: 02F6277B
	v_perm_b32 v63, v123, v122, s48                            // 000000004A68: D1ED003F 00C2F57B
	v_add_f32_e32 v124, v124, v12                              // 000000004A70: 02F8197C
	v_add_f32_e32 v125, v125, v13                              // 000000004A74: 02FA1B7D
	v_perm_b32 v64, v125, v124, s48                            // 000000004A78: D1ED0040 00C2F97D
	v_add_f32_e32 v126, v126, v14                              // 000000004A80: 02FC1D7E
	v_add_f32_e32 v127, v127, v15                              // 000000004A84: 02FE1F7F
	v_perm_b32 v65, v127, v126, s48                            // 000000004A88: D1ED0041 00C2FD7F
	v_add_f32_e32 v128, v128, v16                              // 000000004A90: 03002180
	v_add_f32_e32 v129, v129, v17                              // 000000004A94: 03022381
	v_perm_b32 v66, v129, v128, s48                            // 000000004A98: D1ED0042 00C30181
	v_add_f32_e32 v130, v130, v18                              // 000000004AA0: 03042582
	v_add_f32_e32 v131, v131, v19                              // 000000004AA4: 03062783
	v_perm_b32 v67, v131, v130, s48                            // 000000004AA8: D1ED0043 00C30583
	v_add_f32_e32 v132, v132, v12                              // 000000004AB0: 03081984
	v_add_f32_e32 v133, v133, v13                              // 000000004AB4: 030A1B85
	v_perm_b32 v68, v133, v132, s48                            // 000000004AB8: D1ED0044 00C30985
	v_add_f32_e32 v134, v134, v14                              // 000000004AC0: 030C1D86
	v_add_f32_e32 v135, v135, v15                              // 000000004AC4: 030E1F87
	v_perm_b32 v69, v135, v134, s48                            // 000000004AC8: D1ED0045 00C30D87
	v_add_f32_e32 v136, v136, v16                              // 000000004AD0: 03102188
	v_add_f32_e32 v137, v137, v17                              // 000000004AD4: 03122389
	v_perm_b32 v70, v137, v136, s48                            // 000000004AD8: D1ED0046 00C31189
	v_add_f32_e32 v138, v138, v18                              // 000000004AE0: 0314258A
	v_add_f32_e32 v139, v139, v19                              // 000000004AE4: 0316278B
	v_perm_b32 v71, v139, v138, s48                            // 000000004AE8: D1ED0047 00C3158B
	v_add_f32_e32 v140, v140, v12                              // 000000004AF0: 0318198C
	v_add_f32_e32 v141, v141, v13                              // 000000004AF4: 031A1B8D
	v_perm_b32 v72, v141, v140, s48                            // 000000004AF8: D1ED0048 00C3198D
	v_add_f32_e32 v142, v142, v14                              // 000000004B00: 031C1D8E
	v_add_f32_e32 v143, v143, v15                              // 000000004B04: 031E1F8F
	v_perm_b32 v73, v143, v142, s48                            // 000000004B08: D1ED0049 00C31D8F
	v_add_f32_e32 v144, v144, v16                              // 000000004B10: 03202190
	v_add_f32_e32 v145, v145, v17                              // 000000004B14: 03222391
	v_perm_b32 v74, v145, v144, s48                            // 000000004B18: D1ED004A 00C32191
	v_add_f32_e32 v146, v146, v18                              // 000000004B20: 03242592
	v_add_f32_e32 v147, v147, v19                              // 000000004B24: 03262793
	v_perm_b32 v75, v147, v146, s48                            // 000000004B28: D1ED004B 00C32593
	v_lshrrev_b32_e32 v4, 4, v0                                // 000000004B30: 20080084
	v_mul_u32_u24_e32 v50, 34, v4                              // 000000004B34: 106408A2
	v_and_b32_e32 v4, 15, v0                                   // 000000004B38: 2608008F
	v_mul_lo_u32 v5, 2, v4                                     // 000000004B3C: D2850005 00020882
	v_add_u32_e32 v50, v5, v50                                 // 000000004B44: 68646505
	s_mul_i32 s50, s47, 0x110                                  // 000000004B48: 9232FF2F 00000110
	v_add_u32_e32 v50, s50, v50                                // 000000004B50: 68646432
	v_lshlrev_b32_e32 v50, 2, v50                              // 000000004B54: 24646482
	v_lshrrev_b32_e32 v4, 1, v0                                // 000000004B58: 20080081
	v_mul_u32_u24_e32 v38, 34, v4                              // 000000004B5C: 104C08A2
	v_and_b32_e32 v5, 1, v0                                    // 000000004B60: 260A0081
	v_add_u32_e32 v38, v5, v38                                 // 000000004B64: 684C4D05
	s_mul_i32 s50, s47, 2                                      // 000000004B68: 9232822F
	v_add_u32_e32 v38, s50, v38                                // 000000004B6C: 684C4C32
	v_lshlrev_b32_e32 v38, 2, v38                              // 000000004B70: 244C4C82
	s_waitcnt vmcnt(0) expcnt(0) lgkmcnt(0)                    // 000000004B74: BF8C0000
	s_barrier                                                  // 000000004B78: BF8A0000
	ds_write_b64 v50, v[52:53]                                 // 000000004B7C: D89A0000 00003432
	ds_write_b64 v50, v[54:55] offset:544                      // 000000004B84: D89A0220 00003632
	ds_write_b64 v50, v[56:57] offset:4352                     // 000000004B8C: D89A1100 00003832
	ds_write_b64 v50, v[58:59] offset:4896                     // 000000004B94: D89A1320 00003A32
	ds_write_b64 v50, v[60:61] offset:8704                     // 000000004B9C: D89A2200 00003C32
	ds_write_b64 v50, v[62:63] offset:9248                     // 000000004BA4: D89A2420 00003E32
	ds_write_b64 v50, v[64:65] offset:13056                    // 000000004BAC: D89A3300 00004032
	ds_write_b64 v50, v[66:67] offset:13600                    // 000000004BB4: D89A3520 00004232
	ds_write_b64 v50, v[68:69] offset:17408                    // 000000004BBC: D89A4400 00004432
	ds_write_b64 v50, v[70:71] offset:17952                    // 000000004BC4: D89A4620 00004632
	ds_write_b64 v50, v[72:73] offset:21760                    // 000000004BCC: D89A5500 00004832
	ds_write_b64 v50, v[74:75] offset:22304                    // 000000004BD4: D89A5720 00004A32
	s_waitcnt lgkmcnt(0)                                       // 000000004BDC: BF8CC07F
	s_barrier                                                  // 000000004BE0: BF8A0000
	ds_read_b32 v52, v38                                       // 000000004BE4: D86C0000 34000026
	ds_read_b32 v53, v38 offset:32                             // 000000004BEC: D86C0020 35000026
	ds_read_b32 v54, v38 offset:64                             // 000000004BF4: D86C0040 36000026
	ds_read_b32 v55, v38 offset:96                             // 000000004BFC: D86C0060 37000026
	ds_read_b32 v56, v38 offset:4352                           // 000000004C04: D86C1100 38000026
	ds_read_b32 v57, v38 offset:4384                           // 000000004C0C: D86C1120 39000026
	ds_read_b32 v58, v38 offset:4416                           // 000000004C14: D86C1140 3A000026
	ds_read_b32 v59, v38 offset:4448                           // 000000004C1C: D86C1160 3B000026
	ds_read_b32 v60, v38 offset:8704                           // 000000004C24: D86C2200 3C000026
	ds_read_b32 v61, v38 offset:8736                           // 000000004C2C: D86C2220 3D000026
	ds_read_b32 v62, v38 offset:8768                           // 000000004C34: D86C2240 3E000026
	ds_read_b32 v63, v38 offset:8800                           // 000000004C3C: D86C2260 3F000026
	ds_read_b32 v64, v38 offset:13056                          // 000000004C44: D86C3300 40000026
	ds_read_b32 v65, v38 offset:13088                          // 000000004C4C: D86C3320 41000026
	ds_read_b32 v66, v38 offset:13120                          // 000000004C54: D86C3340 42000026
	ds_read_b32 v67, v38 offset:13152                          // 000000004C5C: D86C3360 43000026
	ds_read_b32 v68, v38 offset:17408                          // 000000004C64: D86C4400 44000026
	ds_read_b32 v69, v38 offset:17440                          // 000000004C6C: D86C4420 45000026
	ds_read_b32 v70, v38 offset:17472                          // 000000004C74: D86C4440 46000026
	ds_read_b32 v71, v38 offset:17504                          // 000000004C7C: D86C4460 47000026
	ds_read_b32 v72, v38 offset:21760                          // 000000004C84: D86C5500 48000026
	ds_read_b32 v73, v38 offset:21792                          // 000000004C8C: D86C5520 49000026
	ds_read_b32 v74, v38 offset:21824                          // 000000004C94: D86C5540 4A000026
	ds_read_b32 v75, v38 offset:21856                          // 000000004C9C: D86C5560 4B000026
	s_waitcnt lgkmcnt(0)                                       // 000000004CA4: BF8CC07F
	s_barrier                                                  // 000000004CA8: BF8A0000
	s_mul_i32 s50, s37, 4                                      // 000000004CAC: 92328425
	s_mul_i32 s51, s37, 8                                      // 000000004CB0: 92338825
	s_mul_i32 s52, s37, 16                                     // 000000004CB4: 92349025
	v_mov_b32_e32 v4, v26                                      // 000000004CB8: 7E08031A
	v_mov_b32_e32 v5, 0                                        // 000000004CBC: 7E0A0280
	v_mov_b32_e32 v7, 0                                        // 000000004CC0: 7E0E0280
	v_mov_b32_e32 v9, 0                                        // 000000004CC4: 7E120280
	v_mov_b32_e32 v11, 0                                       // 000000004CC8: 7E160280
	v_mov_b32_e32 v6, v4                                       // 000000004CCC: 7E0C0304
	v_add_u32_e64 v10, v4, s51                                 // 000000004CD0: D134000A 00006704
	s_cmp_ge_u32 s77, s32                                      // 000000004CD8: BF09204D
	s_cbranch_scc1 label_0B9A                                  // 000000004CDC: BF850122
	global_atomic_pk_add_bf16 v6, v52, s[80:81]                // 000000004CE0: DD488000 00503406
	v_add_u32_e64 v8, v6, s50                                  // 000000004CE8: D1340008 00006506
	s_add_i32 s77, s77, 4                                      // 000000004CF0: 814D844D
	s_cmp_ge_u32 s77, s32                                      // 000000004CF4: BF09204D
	s_cbranch_scc1 label_0B9A                                  // 000000004CF8: BF85011B
	global_atomic_pk_add_bf16 v8, v53, s[80:81]                // 000000004CFC: DD488000 00503508
	s_add_i32 s77, s77, 4                                      // 000000004D04: 814D844D
	s_cmp_ge_u32 s77, s32                                      // 000000004D08: BF09204D
	s_cbranch_scc1 label_0B9A                                  // 000000004D0C: BF850116
	global_atomic_pk_add_bf16 v10, v54, s[80:81]               // 000000004D10: DD488000 0050360A
	v_add_u32_e64 v12, v10, s50                                // 000000004D18: D134000C 0000650A
	s_add_i32 s77, s77, 4                                      // 000000004D20: 814D844D
	s_cmp_ge_u32 s77, s32                                      // 000000004D24: BF09204D
	s_cbranch_scc1 label_0B9A                                  // 000000004D28: BF85010F
	global_atomic_pk_add_bf16 v12, v55, s[80:81]               // 000000004D2C: DD488000 0050370C
	s_add_i32 s77, s77, 4                                      // 000000004D34: 814D844D
	v_add_u32_e64 v4, v4, s52                                  // 000000004D38: D1340004 00006904
	v_mov_b32_e32 v6, v4                                       // 000000004D40: 7E0C0304
	v_add_u32_e64 v10, v4, s51                                 // 000000004D44: D134000A 00006704
	s_cmp_ge_u32 s77, s32                                      // 000000004D4C: BF09204D
	s_cbranch_scc1 label_0B9A                                  // 000000004D50: BF850105
	global_atomic_pk_add_bf16 v6, v56, s[80:81]                // 000000004D54: DD488000 00503806
	v_add_u32_e64 v8, v6, s50                                  // 000000004D5C: D1340008 00006506
	s_add_i32 s77, s77, 4                                      // 000000004D64: 814D844D
	s_cmp_ge_u32 s77, s32                                      // 000000004D68: BF09204D
	s_cbranch_scc1 label_0B9A                                  // 000000004D6C: BF8500FE
	global_atomic_pk_add_bf16 v8, v57, s[80:81]                // 000000004D70: DD488000 00503908
	s_add_i32 s77, s77, 4                                      // 000000004D78: 814D844D
	s_cmp_ge_u32 s77, s32                                      // 000000004D7C: BF09204D
	s_cbranch_scc1 label_0B9A                                  // 000000004D80: BF8500F9
	global_atomic_pk_add_bf16 v10, v58, s[80:81]               // 000000004D84: DD488000 00503A0A
	v_add_u32_e64 v12, v10, s50                                // 000000004D8C: D134000C 0000650A
	s_add_i32 s77, s77, 4                                      // 000000004D94: 814D844D
	s_cmp_ge_u32 s77, s32                                      // 000000004D98: BF09204D
	s_cbranch_scc1 label_0B9A                                  // 000000004D9C: BF8500F2
	global_atomic_pk_add_bf16 v12, v59, s[80:81]               // 000000004DA0: DD488000 00503B0C
	s_add_i32 s77, s77, 4                                      // 000000004DA8: 814D844D
	v_add_u32_e64 v4, v4, s52                                  // 000000004DAC: D1340004 00006904
	v_mov_b32_e32 v6, v4                                       // 000000004DB4: 7E0C0304
	v_add_u32_e64 v10, v4, s51                                 // 000000004DB8: D134000A 00006704
	s_cmp_ge_u32 s77, s32                                      // 000000004DC0: BF09204D
	s_cbranch_scc1 label_0B9A                                  // 000000004DC4: BF8500E8
	global_atomic_pk_add_bf16 v6, v60, s[80:81]                // 000000004DC8: DD488000 00503C06
	v_add_u32_e64 v8, v6, s50                                  // 000000004DD0: D1340008 00006506
	s_add_i32 s77, s77, 4                                      // 000000004DD8: 814D844D
	s_cmp_ge_u32 s77, s32                                      // 000000004DDC: BF09204D
	s_cbranch_scc1 label_0B9A                                  // 000000004DE0: BF8500E1
	global_atomic_pk_add_bf16 v8, v61, s[80:81]                // 000000004DE4: DD488000 00503D08
	s_add_i32 s77, s77, 4                                      // 000000004DEC: 814D844D
	s_cmp_ge_u32 s77, s32                                      // 000000004DF0: BF09204D
	s_cbranch_scc1 label_0B9A                                  // 000000004DF4: BF8500DC
	global_atomic_pk_add_bf16 v10, v62, s[80:81]               // 000000004DF8: DD488000 00503E0A
	v_add_u32_e64 v12, v10, s50                                // 000000004E00: D134000C 0000650A
	s_add_i32 s77, s77, 4                                      // 000000004E08: 814D844D
	s_cmp_ge_u32 s77, s32                                      // 000000004E0C: BF09204D
	s_cbranch_scc1 label_0B9A                                  // 000000004E10: BF8500D5
	global_atomic_pk_add_bf16 v12, v63, s[80:81]               // 000000004E14: DD488000 00503F0C
	s_add_i32 s77, s77, 4                                      // 000000004E1C: 814D844D
	v_add_u32_e64 v4, v4, s52                                  // 000000004E20: D1340004 00006904
	v_mov_b32_e32 v6, v4                                       // 000000004E28: 7E0C0304
	v_add_u32_e64 v10, v4, s51                                 // 000000004E2C: D134000A 00006704
	s_cmp_ge_u32 s77, s32                                      // 000000004E34: BF09204D
	s_cbranch_scc1 label_0B9A                                  // 000000004E38: BF8500CB
	global_atomic_pk_add_bf16 v6, v64, s[80:81]                // 000000004E3C: DD488000 00504006
	v_add_u32_e64 v8, v6, s50                                  // 000000004E44: D1340008 00006506
	s_add_i32 s77, s77, 4                                      // 000000004E4C: 814D844D
	s_cmp_ge_u32 s77, s32                                      // 000000004E50: BF09204D
	s_cbranch_scc1 label_0B9A                                  // 000000004E54: BF8500C4
	global_atomic_pk_add_bf16 v8, v65, s[80:81]                // 000000004E58: DD488000 00504108
	s_add_i32 s77, s77, 4                                      // 000000004E60: 814D844D
	s_cmp_ge_u32 s77, s32                                      // 000000004E64: BF09204D
	s_cbranch_scc1 label_0B9A                                  // 000000004E68: BF8500BF
	global_atomic_pk_add_bf16 v10, v66, s[80:81]               // 000000004E6C: DD488000 0050420A
	v_add_u32_e64 v12, v10, s50                                // 000000004E74: D134000C 0000650A
	s_add_i32 s77, s77, 4                                      // 000000004E7C: 814D844D
	s_cmp_ge_u32 s77, s32                                      // 000000004E80: BF09204D
	s_cbranch_scc1 label_0B9A                                  // 000000004E84: BF8500B8
	global_atomic_pk_add_bf16 v12, v67, s[80:81]               // 000000004E88: DD488000 0050430C
	s_add_i32 s77, s77, 4                                      // 000000004E90: 814D844D
	v_add_u32_e64 v4, v4, s52                                  // 000000004E94: D1340004 00006904
	v_mov_b32_e32 v6, v4                                       // 000000004E9C: 7E0C0304
	v_add_u32_e64 v10, v4, s51                                 // 000000004EA0: D134000A 00006704
	s_cmp_ge_u32 s77, s32                                      // 000000004EA8: BF09204D
	s_cbranch_scc1 label_0B9A                                  // 000000004EAC: BF8500AE
	global_atomic_pk_add_bf16 v6, v68, s[80:81]                // 000000004EB0: DD488000 00504406
	v_add_u32_e64 v8, v6, s50                                  // 000000004EB8: D1340008 00006506
	s_add_i32 s77, s77, 4                                      // 000000004EC0: 814D844D
	s_cmp_ge_u32 s77, s32                                      // 000000004EC4: BF09204D
	s_cbranch_scc1 label_0B9A                                  // 000000004EC8: BF8500A7
	global_atomic_pk_add_bf16 v8, v69, s[80:81]                // 000000004ECC: DD488000 00504508
	s_add_i32 s77, s77, 4                                      // 000000004ED4: 814D844D
	s_cmp_ge_u32 s77, s32                                      // 000000004ED8: BF09204D
	s_cbranch_scc1 label_0B9A                                  // 000000004EDC: BF8500A2
	global_atomic_pk_add_bf16 v10, v70, s[80:81]               // 000000004EE0: DD488000 0050460A
	v_add_u32_e64 v12, v10, s50                                // 000000004EE8: D134000C 0000650A
	s_add_i32 s77, s77, 4                                      // 000000004EF0: 814D844D
	s_cmp_ge_u32 s77, s32                                      // 000000004EF4: BF09204D
	s_cbranch_scc1 label_0B9A                                  // 000000004EF8: BF85009B
	global_atomic_pk_add_bf16 v12, v71, s[80:81]               // 000000004EFC: DD488000 0050470C
	s_add_i32 s77, s77, 4                                      // 000000004F04: 814D844D
	v_add_u32_e64 v4, v4, s52                                  // 000000004F08: D1340004 00006904
	v_mov_b32_e32 v6, v4                                       // 000000004F10: 7E0C0304
	v_add_u32_e64 v10, v4, s51                                 // 000000004F14: D134000A 00006704
	s_cmp_ge_u32 s77, s32                                      // 000000004F1C: BF09204D
	s_cbranch_scc1 label_0B9A                                  // 000000004F20: BF850091
	global_atomic_pk_add_bf16 v6, v72, s[80:81]                // 000000004F24: DD488000 00504806
	v_add_u32_e64 v8, v6, s50                                  // 000000004F2C: D1340008 00006506
	s_add_i32 s77, s77, 4                                      // 000000004F34: 814D844D
	s_cmp_ge_u32 s77, s32                                      // 000000004F38: BF09204D
	s_cbranch_scc1 label_0B9A                                  // 000000004F3C: BF85008A
	global_atomic_pk_add_bf16 v8, v73, s[80:81]                // 000000004F40: DD488000 00504908
	s_add_i32 s77, s77, 4                                      // 000000004F48: 814D844D
	s_cmp_ge_u32 s77, s32                                      // 000000004F4C: BF09204D
	s_cbranch_scc1 label_0B9A                                  // 000000004F50: BF850085
	global_atomic_pk_add_bf16 v10, v74, s[80:81]               // 000000004F54: DD488000 00504A0A
	v_add_u32_e64 v12, v10, s50                                // 000000004F5C: D134000C 0000650A
	s_add_i32 s77, s77, 4                                      // 000000004F64: 814D844D
	s_cmp_ge_u32 s77, s32                                      // 000000004F68: BF09204D
	s_cbranch_scc1 label_0B9A                                  // 000000004F6C: BF85007E
	global_atomic_pk_add_bf16 v12, v75, s[80:81]               // 000000004F70: DD488000 00504B0C
	s_add_i32 s77, s77, 4                                      // 000000004F78: 814D844D
	v_add_u32_e64 v4, v4, s52                                  // 000000004F7C: D1340004 00006904
	s_branch label_0B9A                                        // 000000004F84: BF820078

0000000000004f88 <label_0B22>:
	v_add_f32_e32 v100, v100, v12                              // 000000004F88: 02C81964
	v_add_f32_e32 v101, v101, v13                              // 000000004F8C: 02CA1B65
	v_perm_b32 v52, v101, v100, s48                            // 000000004F90: D1ED0034 00C2C965
	v_add_f32_e32 v102, v102, v14                              // 000000004F98: 02CC1D66
	v_add_f32_e32 v103, v103, v15                              // 000000004F9C: 02CE1F67
	v_perm_b32 v53, v103, v102, s48                            // 000000004FA0: D1ED0035 00C2CD67
	buffer_store_dwordx2 v[52:53], v20, s[16:19], 0 offen      // 000000004FA8: E0741000 80043414
	v_add_f32_e32 v104, v104, v16                              // 000000004FB0: 02D02168
	v_add_f32_e32 v105, v105, v17                              // 000000004FB4: 02D22369
	v_perm_b32 v54, v105, v104, s48                            // 000000004FB8: D1ED0036 00C2D169
	v_add_f32_e32 v106, v106, v18                              // 000000004FC0: 02D4256A
	v_add_f32_e32 v107, v107, v19                              // 000000004FC4: 02D6276B
	v_perm_b32 v55, v107, v106, s48                            // 000000004FC8: D1ED0037 00C2D56B
	buffer_store_dwordx2 v[54:55], v20, s[16:19], 0 offen offset:32// 000000004FD0: E0741020 80043614
	v_add_f32_e32 v108, v108, v12                              // 000000004FD8: 02D8196C
	v_add_f32_e32 v109, v109, v13                              // 000000004FDC: 02DA1B6D
	v_perm_b32 v56, v109, v108, s48                            // 000000004FE0: D1ED0038 00C2D96D
	v_add_f32_e32 v110, v110, v14                              // 000000004FE8: 02DC1D6E
	v_add_f32_e32 v111, v111, v15                              // 000000004FEC: 02DE1F6F
	v_perm_b32 v57, v111, v110, s48                            // 000000004FF0: D1ED0039 00C2DD6F
	buffer_store_dwordx2 v[56:57], v21, s[16:19], 0 offen      // 000000004FF8: E0741000 80043815
	v_add_f32_e32 v112, v112, v16                              // 000000005000: 02E02170
	v_add_f32_e32 v113, v113, v17                              // 000000005004: 02E22371
	v_perm_b32 v58, v113, v112, s48                            // 000000005008: D1ED003A 00C2E171
	v_add_f32_e32 v114, v114, v18                              // 000000005010: 02E42572
	v_add_f32_e32 v115, v115, v19                              // 000000005014: 02E62773
	v_perm_b32 v59, v115, v114, s48                            // 000000005018: D1ED003B 00C2E573
	buffer_store_dwordx2 v[58:59], v21, s[16:19], 0 offen offset:32// 000000005020: E0741020 80043A15
	v_add_f32_e32 v116, v116, v12                              // 000000005028: 02E81974
	v_add_f32_e32 v117, v117, v13                              // 00000000502C: 02EA1B75
	v_perm_b32 v60, v117, v116, s48                            // 000000005030: D1ED003C 00C2E975
	v_add_f32_e32 v118, v118, v14                              // 000000005038: 02EC1D76
	v_add_f32_e32 v119, v119, v15                              // 00000000503C: 02EE1F77
	v_perm_b32 v61, v119, v118, s48                            // 000000005040: D1ED003D 00C2ED77
	buffer_store_dwordx2 v[60:61], v22, s[16:19], 0 offen      // 000000005048: E0741000 80043C16
	v_add_f32_e32 v120, v120, v16                              // 000000005050: 02F02178
	v_add_f32_e32 v121, v121, v17                              // 000000005054: 02F22379
	v_perm_b32 v62, v121, v120, s48                            // 000000005058: D1ED003E 00C2F179
	v_add_f32_e32 v122, v122, v18                              // 000000005060: 02F4257A
	v_add_f32_e32 v123, v123, v19                              // 000000005064: 02F6277B
	v_perm_b32 v63, v123, v122, s48                            // 000000005068: D1ED003F 00C2F57B
	buffer_store_dwordx2 v[62:63], v22, s[16:19], 0 offen offset:32// 000000005070: E0741020 80043E16
	v_add_f32_e32 v124, v124, v12                              // 000000005078: 02F8197C
	v_add_f32_e32 v125, v125, v13                              // 00000000507C: 02FA1B7D
	v_perm_b32 v64, v125, v124, s48                            // 000000005080: D1ED0040 00C2F97D
	v_add_f32_e32 v126, v126, v14                              // 000000005088: 02FC1D7E
	v_add_f32_e32 v127, v127, v15                              // 00000000508C: 02FE1F7F
	v_perm_b32 v65, v127, v126, s48                            // 000000005090: D1ED0041 00C2FD7F
	buffer_store_dwordx2 v[64:65], v23, s[16:19], 0 offen      // 000000005098: E0741000 80044017
	v_add_f32_e32 v128, v128, v16                              // 0000000050A0: 03002180
	v_add_f32_e32 v129, v129, v17                              // 0000000050A4: 03022381
	v_perm_b32 v66, v129, v128, s48                            // 0000000050A8: D1ED0042 00C30181
	v_add_f32_e32 v130, v130, v18                              // 0000000050B0: 03042582
	v_add_f32_e32 v131, v131, v19                              // 0000000050B4: 03062783
	v_perm_b32 v67, v131, v130, s48                            // 0000000050B8: D1ED0043 00C30583
	buffer_store_dwordx2 v[66:67], v23, s[16:19], 0 offen offset:32// 0000000050C0: E0741020 80044217
	v_add_f32_e32 v132, v132, v12                              // 0000000050C8: 03081984
	v_add_f32_e32 v133, v133, v13                              // 0000000050CC: 030A1B85
	v_perm_b32 v68, v133, v132, s48                            // 0000000050D0: D1ED0044 00C30985
	v_add_f32_e32 v134, v134, v14                              // 0000000050D8: 030C1D86
	v_add_f32_e32 v135, v135, v15                              // 0000000050DC: 030E1F87
	v_perm_b32 v69, v135, v134, s48                            // 0000000050E0: D1ED0045 00C30D87
	buffer_store_dwordx2 v[68:69], v24, s[16:19], 0 offen      // 0000000050E8: E0741000 80044418
	v_add_f32_e32 v136, v136, v16                              // 0000000050F0: 03102188
	v_add_f32_e32 v137, v137, v17                              // 0000000050F4: 03122389
	v_perm_b32 v70, v137, v136, s48                            // 0000000050F8: D1ED0046 00C31189
	v_add_f32_e32 v138, v138, v18                              // 000000005100: 0314258A
	v_add_f32_e32 v139, v139, v19                              // 000000005104: 0316278B
	v_perm_b32 v71, v139, v138, s48                            // 000000005108: D1ED0047 00C3158B
	buffer_store_dwordx2 v[70:71], v24, s[16:19], 0 offen offset:32// 000000005110: E0741020 80044618
	v_add_f32_e32 v140, v140, v12                              // 000000005118: 0318198C
	v_add_f32_e32 v141, v141, v13                              // 00000000511C: 031A1B8D
	v_perm_b32 v72, v141, v140, s48                            // 000000005120: D1ED0048 00C3198D
	v_add_f32_e32 v142, v142, v14                              // 000000005128: 031C1D8E
	v_add_f32_e32 v143, v143, v15                              // 00000000512C: 031E1F8F
	v_perm_b32 v73, v143, v142, s48                            // 000000005130: D1ED0049 00C31D8F
	buffer_store_dwordx2 v[72:73], v25, s[16:19], 0 offen      // 000000005138: E0741000 80044819
	v_add_f32_e32 v144, v144, v16                              // 000000005140: 03202190
	v_add_f32_e32 v145, v145, v17                              // 000000005144: 03222391
	v_perm_b32 v74, v145, v144, s48                            // 000000005148: D1ED004A 00C32191
	v_add_f32_e32 v146, v146, v18                              // 000000005150: 03242592
	v_add_f32_e32 v147, v147, v19                              // 000000005154: 03262793
	v_perm_b32 v75, v147, v146, s48                            // 000000005158: D1ED004B 00C32593
	buffer_store_dwordx2 v[74:75], v25, s[16:19], 0 offen offset:32// 000000005160: E0741020 80044A19

0000000000005168 <label_0B9A>:
	s_waitcnt vmcnt(0) expcnt(0) lgkmcnt(0)                    // 000000005168: BF8C0000
	s_endpgm                                                   // 00000000516C: BF810000
